;; amdgpu-corpus repo=ROCm/rocFFT kind=compiled arch=gfx906 opt=O3
	.text
	.amdgcn_target "amdgcn-amd-amdhsa--gfx906"
	.amdhsa_code_object_version 6
	.protected	bluestein_single_fwd_len325_dim1_dp_op_CI_CI ; -- Begin function bluestein_single_fwd_len325_dim1_dp_op_CI_CI
	.globl	bluestein_single_fwd_len325_dim1_dp_op_CI_CI
	.p2align	8
	.type	bluestein_single_fwd_len325_dim1_dp_op_CI_CI,@function
bluestein_single_fwd_len325_dim1_dp_op_CI_CI: ; @bluestein_single_fwd_len325_dim1_dp_op_CI_CI
; %bb.0:
	s_load_dwordx4 s[8:11], s[4:5], 0x28
	v_mul_u32_u24_e32 v1, 0x13b2, v0
	s_mov_b64 s[54:55], s[2:3]
	v_lshrrev_b32_e32 v6, 16, v1
	s_mov_b64 s[52:53], s[0:1]
	v_lshl_add_u32 v4, s6, 2, v6
	v_mov_b32_e32 v5, 0
	s_add_u32 s52, s52, s7
	s_waitcnt lgkmcnt(0)
	v_cmp_gt_u64_e32 vcc, s[8:9], v[4:5]
	s_addc_u32 s53, s53, 0
	s_and_saveexec_b64 s[0:1], vcc
	s_cbranch_execz .LBB0_15
; %bb.1:
	s_load_dwordx4 s[0:3], s[4:5], 0x18
	s_load_dwordx2 s[6:7], s[4:5], 0x0
	v_mul_lo_u16_e32 v1, 13, v6
	v_sub_u16_e32 v184, v0, v1
	v_mov_b32_e32 v5, v4
	s_waitcnt lgkmcnt(0)
	s_load_dwordx4 s[12:15], s[0:1], 0x0
	buffer_store_dword v5, off, s[52:55], 0 offset:28 ; 4-byte Folded Spill
	s_nop 0
	buffer_store_dword v6, off, s[52:55], 0 offset:32 ; 4-byte Folded Spill
	v_lshlrev_b32_e32 v109, 4, v184
	s_waitcnt lgkmcnt(0)
	v_mad_u64_u32 v[0:1], s[0:1], s14, v4, 0
	v_mad_u64_u32 v[2:3], s[0:1], s12, v184, 0
	;; [unrolled: 1-line block ×3, first 2 shown]
	v_mov_b32_e32 v5, s11
	v_mad_u64_u32 v[7:8], s[0:1], s13, v184, v[3:4]
	v_mov_b32_e32 v1, v4
	v_lshlrev_b64 v[0:1], 4, v[0:1]
	v_mov_b32_e32 v3, v7
	v_lshlrev_b64 v[2:3], 4, v[2:3]
	v_add_co_u32_e32 v4, vcc, s10, v0
	v_addc_co_u32_e32 v5, vcc, v5, v1, vcc
	v_add_co_u32_e32 v0, vcc, v4, v2
	v_addc_co_u32_e32 v1, vcc, v5, v3, vcc
	s_mul_i32 s0, s13, 25
	s_mul_hi_u32 s1, s12, 25
	v_mov_b32_e32 v2, s7
	v_add_co_u32_e32 v56, vcc, s6, v109
	s_add_i32 s1, s1, s0
	s_mul_i32 s0, s12, 25
	v_addc_co_u32_e32 v57, vcc, 0, v2, vcc
	s_lshl_b64 s[16:17], s[0:1], 4
	v_mov_b32_e32 v55, s17
	v_add_co_u32_e32 v2, vcc, s16, v0
	v_addc_co_u32_e32 v3, vcc, v1, v55, vcc
	global_load_dwordx4 v[7:10], v[0:1], off
	global_load_dwordx4 v[11:14], v[2:3], off
	global_load_dwordx4 v[63:66], v109, s[6:7]
	global_load_dwordx4 v[118:121], v109, s[6:7] offset:400
	v_add_co_u32_e32 v0, vcc, s16, v2
	v_addc_co_u32_e32 v1, vcc, v3, v55, vcc
	v_add_co_u32_e32 v2, vcc, s16, v0
	v_addc_co_u32_e32 v3, vcc, v1, v55, vcc
	global_load_dwordx4 v[15:18], v[0:1], off
	global_load_dwordx4 v[19:22], v[2:3], off
	global_load_dwordx4 v[122:125], v109, s[6:7] offset:800
	global_load_dwordx4 v[100:103], v109, s[6:7] offset:1200
	v_add_co_u32_e32 v0, vcc, s16, v2
	v_addc_co_u32_e32 v1, vcc, v3, v55, vcc
	global_load_dwordx4 v[23:26], v[0:1], off
	v_add_co_u32_e32 v0, vcc, s16, v0
	v_addc_co_u32_e32 v1, vcc, v1, v55, vcc
	global_load_dwordx4 v[27:30], v[0:1], off
	global_load_dwordx4 v[114:117], v109, s[6:7] offset:1600
	global_load_dwordx4 v[92:95], v109, s[6:7] offset:2000
	v_add_co_u32_e32 v0, vcc, s16, v0
	v_addc_co_u32_e32 v1, vcc, v1, v55, vcc
	global_load_dwordx4 v[31:34], v[0:1], off
	v_add_co_u32_e32 v0, vcc, s16, v0
	v_addc_co_u32_e32 v1, vcc, v1, v55, vcc
	;; [unrolled: 8-line block ×3, first 2 shown]
	global_load_dwordx4 v[43:46], v[0:1], off
	global_load_dwordx4 v[104:107], v109, s[6:7] offset:3200
	global_load_dwordx4 v[80:83], v109, s[6:7] offset:3600
	v_add_co_u32_e32 v0, vcc, s16, v0
	v_addc_co_u32_e32 v1, vcc, v1, v55, vcc
	v_add_co_u32_e32 v2, vcc, s16, v0
	v_addc_co_u32_e32 v3, vcc, v1, v55, vcc
	s_movk_i32 s0, 0x1000
	global_load_dwordx4 v[47:50], v[0:1], off
	global_load_dwordx4 v[76:79], v109, s[6:7] offset:4000
	global_load_dwordx4 v[51:54], v[2:3], off
	v_add_co_u32_e32 v0, vcc, s0, v56
	buffer_store_dword v56, off, s[52:55], 0 offset:20 ; 4-byte Folded Spill
	s_nop 0
	buffer_store_dword v57, off, s[52:55], 0 offset:24 ; 4-byte Folded Spill
	v_and_b32_e32 v75, 3, v6
	s_waitcnt vmcnt(22)
	v_mul_f64 v[59:60], v[9:10], v[65:66]
	v_mul_f64 v[61:62], v[7:8], v[65:66]
	v_fma_f64 v[6:7], v[7:8], v[63:64], v[59:60]
	s_waitcnt vmcnt(21)
	v_mul_f64 v[59:60], v[13:14], v[120:121]
	s_waitcnt vmcnt(17)
	v_mul_f64 v[67:68], v[21:22], v[102:103]
	v_mul_f64 v[69:70], v[19:20], v[102:103]
	s_waitcnt vmcnt(14)
	v_mul_f64 v[71:72], v[25:26], v[116:117]
	v_mul_f64 v[73:74], v[23:24], v[116:117]
	v_addc_co_u32_e32 v1, vcc, 0, v57, vcc
	v_add_co_u32_e32 v2, vcc, s16, v2
	v_addc_co_u32_e32 v3, vcc, v3, v55, vcc
	global_load_dwordx4 v[88:91], v[0:1], off offset:304
	global_load_dwordx4 v[55:58], v[2:3], off
	global_load_dwordx4 v[96:99], v[0:1], off offset:704
	s_load_dwordx2 s[14:15], s[4:5], 0x38
	s_load_dwordx4 s[8:11], s[2:3], 0x0
	buffer_store_dword v63, off, s[52:55], 0 offset:228 ; 4-byte Folded Spill
	s_nop 0
	buffer_store_dword v64, off, s[52:55], 0 offset:232 ; 4-byte Folded Spill
	buffer_store_dword v65, off, s[52:55], 0 offset:236 ; 4-byte Folded Spill
	;; [unrolled: 1-line block ×3, first 2 shown]
	v_mul_f64 v[65:66], v[15:16], v[124:125]
	v_cmp_gt_u16_e32 vcc, 12, v184
	v_fma_f64 v[8:9], v[9:10], v[63:64], -v[61:62]
	v_mul_f64 v[61:62], v[11:12], v[120:121]
	v_fma_f64 v[10:11], v[11:12], v[118:119], v[59:60]
	buffer_store_dword v118, off, s[52:55], 0 offset:196 ; 4-byte Folded Spill
	s_nop 0
	buffer_store_dword v119, off, s[52:55], 0 offset:200 ; 4-byte Folded Spill
	buffer_store_dword v120, off, s[52:55], 0 offset:204 ; 4-byte Folded Spill
	;; [unrolled: 1-line block ×3, first 2 shown]
	v_mul_f64 v[63:64], v[17:18], v[124:125]
	v_fma_f64 v[12:13], v[13:14], v[118:119], -v[61:62]
	v_fma_f64 v[14:15], v[15:16], v[122:123], v[63:64]
	buffer_store_dword v122, off, s[52:55], 0 offset:212 ; 4-byte Folded Spill
	s_nop 0
	buffer_store_dword v123, off, s[52:55], 0 offset:216 ; 4-byte Folded Spill
	buffer_store_dword v124, off, s[52:55], 0 offset:220 ; 4-byte Folded Spill
	buffer_store_dword v125, off, s[52:55], 0 offset:224 ; 4-byte Folded Spill
	v_fma_f64 v[16:17], v[17:18], v[122:123], -v[65:66]
	v_fma_f64 v[18:19], v[19:20], v[100:101], v[67:68]
	buffer_store_dword v100, off, s[52:55], 0 offset:132 ; 4-byte Folded Spill
	s_nop 0
	buffer_store_dword v101, off, s[52:55], 0 offset:136 ; 4-byte Folded Spill
	buffer_store_dword v102, off, s[52:55], 0 offset:140 ; 4-byte Folded Spill
	buffer_store_dword v103, off, s[52:55], 0 offset:144 ; 4-byte Folded Spill
	;; [unrolled: 7-line block ×3, first 2 shown]
	v_fma_f64 v[24:25], v[25:26], v[114:115], -v[73:74]
	v_mul_u32_u24_e32 v26, 0x145, v75
	v_lshlrev_b32_e32 v211, 4, v26
	v_add_u32_e32 v108, v211, v109
	ds_write_b128 v108, v[6:9]
	ds_write_b128 v108, v[10:13] offset:400
	ds_write_b128 v108, v[14:17] offset:800
	;; [unrolled: 1-line block ×4, first 2 shown]
	s_waitcnt vmcnt(36)
	v_mul_f64 v[6:7], v[29:30], v[94:95]
	s_waitcnt vmcnt(33)
	v_mul_f64 v[10:11], v[33:34], v[112:113]
	v_mul_f64 v[8:9], v[27:28], v[94:95]
	;; [unrolled: 1-line block ×3, first 2 shown]
	s_waitcnt vmcnt(32)
	v_mul_f64 v[14:15], v[37:38], v[86:87]
	v_mul_f64 v[16:17], v[35:36], v[86:87]
	s_waitcnt vmcnt(29)
	v_mul_f64 v[18:19], v[41:42], v[106:107]
	s_waitcnt vmcnt(28)
	v_mul_f64 v[22:23], v[45:46], v[82:83]
	v_fma_f64 v[6:7], v[27:28], v[92:93], v[6:7]
	buffer_store_dword v92, off, s[52:55], 0 offset:100 ; 4-byte Folded Spill
	s_nop 0
	buffer_store_dword v93, off, s[52:55], 0 offset:104 ; 4-byte Folded Spill
	buffer_store_dword v94, off, s[52:55], 0 offset:108 ; 4-byte Folded Spill
	buffer_store_dword v95, off, s[52:55], 0 offset:112 ; 4-byte Folded Spill
	v_fma_f64 v[10:11], v[31:32], v[110:111], v[10:11]
	buffer_store_dword v110, off, s[52:55], 0 offset:164 ; 4-byte Folded Spill
	s_nop 0
	buffer_store_dword v111, off, s[52:55], 0 offset:168 ; 4-byte Folded Spill
	buffer_store_dword v112, off, s[52:55], 0 offset:172 ; 4-byte Folded Spill
	buffer_store_dword v113, off, s[52:55], 0 offset:176 ; 4-byte Folded Spill
	;; [unrolled: 6-line block ×3, first 2 shown]
	s_waitcnt vmcnt(38)
	v_mul_f64 v[26:27], v[49:50], v[78:79]
	v_mul_f64 v[20:21], v[39:40], v[106:107]
	v_fma_f64 v[18:19], v[39:40], v[104:105], v[18:19]
	buffer_store_dword v104, off, s[52:55], 0 offset:148 ; 4-byte Folded Spill
	s_nop 0
	buffer_store_dword v105, off, s[52:55], 0 offset:152 ; 4-byte Folded Spill
	buffer_store_dword v106, off, s[52:55], 0 offset:156 ; 4-byte Folded Spill
	;; [unrolled: 1-line block ×3, first 2 shown]
	v_mul_f64 v[24:25], v[43:44], v[82:83]
	v_fma_f64 v[22:23], v[43:44], v[80:81], v[22:23]
	buffer_store_dword v80, off, s[52:55], 0 offset:52 ; 4-byte Folded Spill
	s_nop 0
	buffer_store_dword v81, off, s[52:55], 0 offset:56 ; 4-byte Folded Spill
	buffer_store_dword v82, off, s[52:55], 0 offset:60 ; 4-byte Folded Spill
	;; [unrolled: 1-line block ×3, first 2 shown]
	v_fma_f64 v[26:27], v[47:48], v[76:77], v[26:27]
	v_fma_f64 v[8:9], v[29:30], v[92:93], -v[8:9]
	s_waitcnt vmcnt(42)
	v_mul_f64 v[30:31], v[53:54], v[90:91]
	v_fma_f64 v[12:13], v[33:34], v[110:111], -v[12:13]
	s_waitcnt vmcnt(40)
	v_mul_f64 v[34:35], v[57:58], v[98:99]
	v_mul_f64 v[28:29], v[47:48], v[78:79]
	buffer_store_dword v76, off, s[52:55], 0 offset:36 ; 4-byte Folded Spill
	s_nop 0
	buffer_store_dword v77, off, s[52:55], 0 offset:40 ; 4-byte Folded Spill
	buffer_store_dword v78, off, s[52:55], 0 offset:44 ; 4-byte Folded Spill
	buffer_store_dword v79, off, s[52:55], 0 offset:48 ; 4-byte Folded Spill
	v_mul_f64 v[32:33], v[51:52], v[90:91]
	v_fma_f64 v[16:17], v[37:38], v[84:85], -v[16:17]
	v_mul_f64 v[36:37], v[55:56], v[98:99]
	v_fma_f64 v[30:31], v[51:52], v[88:89], v[30:31]
	buffer_store_dword v88, off, s[52:55], 0 offset:84 ; 4-byte Folded Spill
	s_nop 0
	buffer_store_dword v89, off, s[52:55], 0 offset:88 ; 4-byte Folded Spill
	buffer_store_dword v90, off, s[52:55], 0 offset:92 ; 4-byte Folded Spill
	;; [unrolled: 1-line block ×3, first 2 shown]
	v_fma_f64 v[34:35], v[55:56], v[96:97], v[34:35]
	buffer_store_dword v96, off, s[52:55], 0 offset:116 ; 4-byte Folded Spill
	s_nop 0
	buffer_store_dword v97, off, s[52:55], 0 offset:120 ; 4-byte Folded Spill
	buffer_store_dword v98, off, s[52:55], 0 offset:124 ; 4-byte Folded Spill
	;; [unrolled: 1-line block ×3, first 2 shown]
	v_fma_f64 v[20:21], v[41:42], v[104:105], -v[20:21]
	v_fma_f64 v[24:25], v[45:46], v[80:81], -v[24:25]
	;; [unrolled: 1-line block ×5, first 2 shown]
	ds_write_b128 v108, v[6:9] offset:2000
	ds_write_b128 v108, v[10:13] offset:2400
	;; [unrolled: 1-line block ×8, first 2 shown]
	s_and_saveexec_b64 s[2:3], vcc
	s_cbranch_execz .LBB0_3
; %bb.2:
	v_mov_b32_e32 v6, 0xffffee10
	v_mad_u64_u32 v[2:3], s[0:1], s12, v6, v[2:3]
	s_mul_i32 s0, s13, 0xffffee10
	s_sub_i32 s0, s0, s12
	v_add_u32_e32 v3, s0, v3
	global_load_dwordx4 v[6:9], v[2:3], off
	v_mov_b32_e32 v87, s17
	v_add_co_u32_e64 v2, s[0:1], s16, v2
	v_addc_co_u32_e64 v3, s[0:1], v3, v87, s[0:1]
	global_load_dwordx4 v[10:13], v[2:3], off
	buffer_load_dword v82, off, s[52:55], 0 offset:20 ; 4-byte Folded Reload
	buffer_load_dword v83, off, s[52:55], 0 offset:24 ; 4-byte Folded Reload
	v_add_co_u32_e64 v2, s[0:1], s16, v2
	v_addc_co_u32_e64 v3, s[0:1], v3, v87, s[0:1]
	v_or_b32_e32 v94, 0x120, v184
	s_waitcnt vmcnt(0)
	global_load_dwordx4 v[14:17], v[82:83], off offset:208
	global_load_dwordx4 v[18:21], v[82:83], off offset:608
	global_load_dwordx4 v[22:25], v[2:3], off
	v_add_co_u32_e64 v2, s[0:1], s16, v2
	v_addc_co_u32_e64 v3, s[0:1], v3, v87, s[0:1]
	global_load_dwordx4 v[26:29], v[2:3], off
	global_load_dwordx4 v[30:33], v[82:83], off offset:1008
	global_load_dwordx4 v[34:37], v[82:83], off offset:1408
	v_add_co_u32_e64 v2, s[0:1], s16, v2
	v_addc_co_u32_e64 v3, s[0:1], v3, v87, s[0:1]
	global_load_dwordx4 v[38:41], v[2:3], off
	v_add_co_u32_e64 v2, s[0:1], s16, v2
	v_addc_co_u32_e64 v3, s[0:1], v3, v87, s[0:1]
	global_load_dwordx4 v[42:45], v[2:3], off
	global_load_dwordx4 v[46:49], v[82:83], off offset:1808
	global_load_dwordx4 v[50:53], v[82:83], off offset:2208
	v_add_co_u32_e64 v2, s[0:1], s16, v2
	v_addc_co_u32_e64 v3, s[0:1], v3, v87, s[0:1]
	global_load_dwordx4 v[54:57], v[2:3], off
	v_add_co_u32_e64 v2, s[0:1], s16, v2
	v_addc_co_u32_e64 v3, s[0:1], v3, v87, s[0:1]
	global_load_dwordx4 v[58:61], v[2:3], off
	global_load_dwordx4 v[62:65], v[82:83], off offset:2608
	global_load_dwordx4 v[66:69], v[82:83], off offset:3008
	v_add_co_u32_e64 v2, s[0:1], s16, v2
	v_addc_co_u32_e64 v3, s[0:1], v3, v87, s[0:1]
	global_load_dwordx4 v[70:73], v[2:3], off
	v_add_co_u32_e64 v2, s[0:1], s16, v2
	v_addc_co_u32_e64 v3, s[0:1], v3, v87, s[0:1]
	v_mad_u64_u32 v[90:91], s[0:1], s12, v94, 0
	global_load_dwordx4 v[74:77], v[2:3], off
	global_load_dwordx4 v[78:81], v[82:83], off offset:3408
	s_nop 0
	global_load_dwordx4 v[82:85], v[82:83], off offset:3808
	v_mov_b32_e32 v86, v91
	v_mad_u64_u32 v[91:92], s[0:1], s13, v94, v[86:87]
	v_add_co_u32_e64 v92, s[0:1], s16, v2
	v_addc_co_u32_e64 v93, s[0:1], v3, v87, s[0:1]
	v_lshlrev_b64 v[2:3], 4, v[90:91]
	v_mov_b32_e32 v91, 0x320
	v_add_co_u32_e64 v2, s[0:1], v4, v2
	v_addc_co_u32_e64 v3, s[0:1], v5, v3, s[0:1]
	v_mad_u64_u32 v[98:99], s[0:1], s12, v91, v[92:93]
	v_lshlrev_b32_e32 v90, 4, v94
	global_load_dwordx4 v[86:89], v[92:93], off
	s_mul_i32 s0, s13, 0x320
	global_load_dwordx4 v[2:5], v[2:3], off
	s_nop 0
	global_load_dwordx4 v[90:93], v90, s[6:7]
	s_nop 0
	global_load_dwordx4 v[94:97], v[0:1], off offset:112
	v_add_u32_e32 v99, s0, v99
	global_load_dwordx4 v[98:101], v[98:99], off
	s_nop 0
	global_load_dwordx4 v[102:105], v[0:1], off offset:912
	s_waitcnt vmcnt(23)
	v_mul_f64 v[0:1], v[8:9], v[16:17]
	v_mul_f64 v[16:17], v[6:7], v[16:17]
	v_fma_f64 v[6:7], v[6:7], v[14:15], v[0:1]
	v_fma_f64 v[8:9], v[8:9], v[14:15], -v[16:17]
	s_waitcnt vmcnt(22)
	v_mul_f64 v[0:1], v[12:13], v[20:21]
	v_mul_f64 v[14:15], v[10:11], v[20:21]
	s_waitcnt vmcnt(19)
	v_mul_f64 v[16:17], v[24:25], v[32:33]
	v_mul_f64 v[20:21], v[22:23], v[32:33]
	;; [unrolled: 3-line block ×4, first 2 shown]
	v_fma_f64 v[10:11], v[10:11], v[18:19], v[0:1]
	v_fma_f64 v[12:13], v[12:13], v[18:19], -v[14:15]
	v_fma_f64 v[14:15], v[22:23], v[30:31], v[16:17]
	v_fma_f64 v[16:17], v[24:25], v[30:31], -v[20:21]
	;; [unrolled: 2-line block ×4, first 2 shown]
	s_waitcnt vmcnt(14)
	v_mul_f64 v[0:1], v[44:45], v[52:53]
	ds_write_b128 v108, v[6:9] offset:208
	ds_write_b128 v108, v[10:13] offset:608
	;; [unrolled: 1-line block ×5, first 2 shown]
	v_mul_f64 v[8:9], v[42:43], v[52:53]
	s_waitcnt vmcnt(11)
	v_mul_f64 v[10:11], v[56:57], v[64:65]
	v_mul_f64 v[12:13], v[54:55], v[64:65]
	s_waitcnt vmcnt(10)
	v_mul_f64 v[14:15], v[60:61], v[68:69]
	v_mul_f64 v[16:17], v[58:59], v[68:69]
	v_fma_f64 v[6:7], v[42:43], v[50:51], v[0:1]
	s_waitcnt vmcnt(7)
	v_mul_f64 v[18:19], v[72:73], v[80:81]
	v_mul_f64 v[20:21], v[70:71], v[80:81]
	s_waitcnt vmcnt(6)
	v_mul_f64 v[0:1], v[76:77], v[84:85]
	v_mul_f64 v[24:25], v[74:75], v[84:85]
	v_fma_f64 v[8:9], v[44:45], v[50:51], -v[8:9]
	v_fma_f64 v[10:11], v[54:55], v[62:63], v[10:11]
	v_fma_f64 v[12:13], v[56:57], v[62:63], -v[12:13]
	v_fma_f64 v[14:15], v[58:59], v[66:67], v[14:15]
	;; [unrolled: 2-line block ×4, first 2 shown]
	v_fma_f64 v[24:25], v[76:77], v[82:83], -v[24:25]
	s_waitcnt vmcnt(3)
	v_mul_f64 v[30:31], v[4:5], v[92:93]
	s_waitcnt vmcnt(2)
	v_mul_f64 v[26:27], v[88:89], v[96:97]
	v_mul_f64 v[28:29], v[86:87], v[96:97]
	;; [unrolled: 1-line block ×3, first 2 shown]
	s_waitcnt vmcnt(0)
	v_mul_f64 v[34:35], v[100:101], v[104:105]
	v_mul_f64 v[36:37], v[98:99], v[104:105]
	v_fma_f64 v[0:1], v[2:3], v[90:91], v[30:31]
	v_fma_f64 v[26:27], v[86:87], v[94:95], v[26:27]
	v_fma_f64 v[28:29], v[88:89], v[94:95], -v[28:29]
	v_fma_f64 v[2:3], v[4:5], v[90:91], -v[32:33]
	v_fma_f64 v[30:31], v[98:99], v[102:103], v[34:35]
	v_fma_f64 v[32:33], v[100:101], v[102:103], -v[36:37]
	ds_write_b128 v108, v[6:9] offset:2208
	ds_write_b128 v108, v[10:13] offset:2608
	;; [unrolled: 1-line block ×8, first 2 shown]
.LBB0_3:
	s_or_b64 exec, exec, s[2:3]
	s_waitcnt lgkmcnt(0)
	; wave barrier
	s_waitcnt lgkmcnt(0)
	ds_read_b128 v[32:35], v108
	ds_read_b128 v[36:39], v108 offset:400
	ds_read_b128 v[24:27], v108 offset:800
	ds_read_b128 v[16:19], v108 offset:1200
	ds_read_b128 v[8:11], v108 offset:1600
	ds_read_b128 v[0:3], v108 offset:2000
	ds_read_b128 v[52:55], v108 offset:2400
	ds_read_b128 v[112:115], v108 offset:2800
	ds_read_b128 v[4:7], v108 offset:3200
	ds_read_b128 v[12:15], v108 offset:3600
	ds_read_b128 v[20:23], v108 offset:4000
	ds_read_b128 v[28:31], v108 offset:4400
	ds_read_b128 v[40:43], v108 offset:4800
	s_load_dwordx2 s[2:3], s[4:5], 0x8
                                        ; implicit-def: $vgpr56_vgpr57
                                        ; implicit-def: $vgpr60_vgpr61
                                        ; implicit-def: $vgpr64_vgpr65
                                        ; implicit-def: $vgpr68_vgpr69
                                        ; implicit-def: $vgpr72_vgpr73
                                        ; implicit-def: $vgpr76_vgpr77
                                        ; implicit-def: $vgpr80_vgpr81
                                        ; implicit-def: $vgpr84_vgpr85
                                        ; implicit-def: $vgpr88_vgpr89
                                        ; implicit-def: $vgpr92_vgpr93
                                        ; implicit-def: $vgpr96_vgpr97
                                        ; implicit-def: $vgpr100_vgpr101
                                        ; implicit-def: $vgpr104_vgpr105
	s_and_saveexec_b64 s[0:1], vcc
	s_cbranch_execz .LBB0_5
; %bb.4:
	ds_read_b128 v[56:59], v108 offset:208
	ds_read_b128 v[60:63], v108 offset:608
	;; [unrolled: 1-line block ×13, first 2 shown]
.LBB0_5:
	s_or_b64 exec, exec, s[0:1]
	s_waitcnt lgkmcnt(0)
	v_add_f64 v[46:47], v[34:35], v[38:39]
	v_add_f64 v[44:45], v[32:33], v[36:37]
	s_mov_b32 s18, 0x4267c47c
	s_mov_b32 s20, 0x42a4c3d2
	;; [unrolled: 1-line block ×6, first 2 shown]
	v_add_f64 v[46:47], v[46:47], v[26:27]
	v_add_f64 v[44:45], v[44:45], v[24:25]
	s_mov_b32 s19, 0xbfddbe06
	s_mov_b32 s21, 0xbfea55e2
	;; [unrolled: 1-line block ×6, first 2 shown]
	v_add_f64 v[46:47], v[46:47], v[18:19]
	v_add_f64 v[44:45], v[44:45], v[16:17]
	v_add_co_u32_e64 v186, s[0:1], 13, v184
	s_mov_b32 s0, 0xe00740e9
	s_mov_b32 s4, 0x1ea71119
	s_mov_b32 s12, 0xebaa3ed8
	s_mov_b32 s16, 0xb2365da1
	v_add_f64 v[46:47], v[46:47], v[10:11]
	v_add_f64 v[44:45], v[44:45], v[8:9]
	s_mov_b32 s22, 0xd0032e0c
	s_mov_b32 s30, 0x93053d00
	s_mov_b32 s1, 0x3fec55a7
	s_mov_b32 s5, 0x3fe22d96
	s_mov_b32 s13, 0x3fbedb7d
	s_mov_b32 s17, 0xbfd6b1d8
	v_add_f64 v[46:47], v[46:47], v[2:3]
	v_add_f64 v[44:45], v[44:45], v[0:1]
	s_mov_b32 s23, 0xbfe7f3cc
	s_mov_b32 s31, 0xbfef11f4
	;; [unrolled: 8-line block ×4, first 2 shown]
	v_add_f64 v[46:47], v[46:47], v[6:7]
	v_add_f64 v[44:45], v[44:45], v[4:5]
	;; [unrolled: 1-line block ×10, first 2 shown]
	v_add_f64 v[38:39], v[38:39], -v[42:43]
	v_add_f64 v[142:143], v[44:45], v[40:41]
	v_add_f64 v[44:45], v[36:37], v[40:41]
	v_add_f64 v[36:37], v[36:37], -v[40:41]
	v_mul_f64 v[40:41], v[38:39], s[18:19]
	v_mul_f64 v[110:111], v[38:39], s[20:21]
	;; [unrolled: 1-line block ×8, first 2 shown]
	v_fma_f64 v[42:43], v[44:45], s[0:1], -v[40:41]
	v_fma_f64 v[40:41], v[44:45], s[0:1], v[40:41]
	v_fma_f64 v[116:117], v[44:45], s[4:5], -v[110:111]
	v_fma_f64 v[110:111], v[44:45], s[4:5], v[110:111]
	v_fma_f64 v[124:125], v[44:45], s[12:13], -v[122:123]
	v_mul_f64 v[126:127], v[36:37], s[26:27]
	v_fma_f64 v[122:123], v[44:45], s[12:13], v[122:123]
	v_fma_f64 v[132:133], v[44:45], s[16:17], -v[130:131]
	v_mul_f64 v[134:135], v[36:37], s[24:25]
	;; [unrolled: 3-line block ×4, first 2 shown]
	v_fma_f64 v[38:39], v[44:45], s[30:31], v[38:39]
	v_add_f64 v[42:43], v[32:33], v[42:43]
	v_fma_f64 v[50:51], v[46:47], s[0:1], v[48:49]
	v_add_f64 v[40:41], v[32:33], v[40:41]
	v_fma_f64 v[48:49], v[46:47], s[0:1], -v[48:49]
	v_add_f64 v[116:117], v[32:33], v[116:117]
	v_fma_f64 v[120:121], v[46:47], s[4:5], v[118:119]
	v_add_f64 v[110:111], v[32:33], v[110:111]
	v_fma_f64 v[118:119], v[46:47], s[4:5], -v[118:119]
	;; [unrolled: 4-line block ×6, first 2 shown]
	v_add_f64 v[38:39], v[26:27], v[30:31]
	v_add_f64 v[26:27], v[26:27], -v[30:31]
	v_add_f64 v[50:51], v[34:35], v[50:51]
	v_add_f64 v[48:49], v[34:35], v[48:49]
	;; [unrolled: 1-line block ×13, first 2 shown]
	v_add_f64 v[24:25], v[24:25], -v[28:29]
	v_mul_f64 v[28:29], v[26:27], s[20:21]
	v_fma_f64 v[30:31], v[36:37], s[4:5], -v[28:29]
	v_fma_f64 v[28:29], v[36:37], s[4:5], v[28:29]
	v_add_f64 v[30:31], v[30:31], v[42:43]
	v_mul_f64 v[42:43], v[24:25], s[20:21]
	v_add_f64 v[28:29], v[28:29], v[40:41]
	v_fma_f64 v[44:45], v[38:39], s[4:5], v[42:43]
	v_fma_f64 v[40:41], v[38:39], s[4:5], -v[42:43]
	v_mul_f64 v[42:43], v[26:27], s[24:25]
	v_add_f64 v[44:45], v[44:45], v[50:51]
	v_add_f64 v[40:41], v[40:41], v[48:49]
	v_fma_f64 v[46:47], v[36:37], s[16:17], -v[42:43]
	v_mul_f64 v[48:49], v[24:25], s[24:25]
	v_fma_f64 v[42:43], v[36:37], s[16:17], v[42:43]
	v_add_f64 v[46:47], v[46:47], v[116:117]
	v_fma_f64 v[50:51], v[38:39], s[16:17], v[48:49]
	v_add_f64 v[42:43], v[42:43], v[110:111]
	v_fma_f64 v[48:49], v[38:39], s[16:17], -v[48:49]
	v_mul_f64 v[110:111], v[26:27], s[34:35]
	v_add_f64 v[50:51], v[50:51], v[120:121]
	v_add_f64 v[48:49], v[48:49], v[118:119]
	v_fma_f64 v[116:117], v[36:37], s[30:31], -v[110:111]
	v_mul_f64 v[118:119], v[24:25], s[34:35]
	v_fma_f64 v[110:111], v[36:37], s[30:31], v[110:111]
	v_add_f64 v[116:117], v[116:117], v[124:125]
	v_fma_f64 v[120:121], v[38:39], s[30:31], v[118:119]
	v_add_f64 v[110:111], v[110:111], v[122:123]
	;; [unrolled: 10-line block ×3, first 2 shown]
	v_fma_f64 v[126:127], v[38:39], s[22:23], -v[126:127]
	v_mul_f64 v[130:131], v[26:27], s[38:39]
	v_mul_f64 v[26:27], v[26:27], s[40:41]
	v_add_f64 v[128:129], v[128:129], v[136:137]
	v_add_f64 v[126:127], v[126:127], v[134:135]
	v_fma_f64 v[132:133], v[36:37], s[12:13], -v[130:131]
	v_mul_f64 v[134:135], v[24:25], s[38:39]
	v_mul_f64 v[24:25], v[24:25], s[40:41]
	v_fma_f64 v[130:131], v[36:37], s[12:13], v[130:131]
	v_add_f64 v[132:133], v[132:133], v[140:141]
	v_fma_f64 v[136:137], v[38:39], s[12:13], v[134:135]
	v_fma_f64 v[140:141], v[38:39], s[0:1], v[24:25]
	v_fma_f64 v[24:25], v[38:39], s[0:1], -v[24:25]
	v_add_f64 v[130:131], v[130:131], v[138:139]
	v_fma_f64 v[138:139], v[36:37], s[0:1], -v[26:27]
	v_fma_f64 v[26:27], v[36:37], s[0:1], v[26:27]
	v_fma_f64 v[134:135], v[38:39], s[12:13], -v[134:135]
	v_add_f64 v[136:137], v[136:137], v[148:149]
	v_add_f64 v[140:141], v[140:141], v[152:153]
	;; [unrolled: 1-line block ×4, first 2 shown]
	v_add_f64 v[18:19], v[18:19], -v[22:23]
	v_add_f64 v[26:27], v[26:27], v[32:33]
	v_add_f64 v[32:33], v[16:17], v[20:21]
	v_add_f64 v[16:17], v[16:17], -v[20:21]
	v_add_f64 v[134:135], v[134:135], v[146:147]
	v_add_f64 v[138:139], v[138:139], v[150:151]
	;; [unrolled: 1-line block ×3, first 2 shown]
	v_mul_f64 v[20:21], v[18:19], s[26:27]
	v_fma_f64 v[22:23], v[32:33], s[12:13], -v[20:21]
	v_fma_f64 v[20:21], v[32:33], s[12:13], v[20:21]
	v_add_f64 v[22:23], v[22:23], v[30:31]
	v_mul_f64 v[30:31], v[16:17], s[26:27]
	v_add_f64 v[20:21], v[20:21], v[28:29]
	v_fma_f64 v[36:37], v[34:35], s[12:13], v[30:31]
	v_fma_f64 v[28:29], v[34:35], s[12:13], -v[30:31]
	v_mul_f64 v[30:31], v[18:19], s[34:35]
	v_add_f64 v[36:37], v[36:37], v[44:45]
	v_add_f64 v[28:29], v[28:29], v[40:41]
	v_fma_f64 v[38:39], v[32:33], s[30:31], -v[30:31]
	v_fma_f64 v[30:31], v[32:33], s[30:31], v[30:31]
	v_mul_f64 v[40:41], v[16:17], s[34:35]
	v_add_f64 v[38:39], v[38:39], v[46:47]
	v_add_f64 v[30:31], v[30:31], v[42:43]
	v_mul_f64 v[42:43], v[18:19], s[42:43]
	v_fma_f64 v[44:45], v[34:35], s[30:31], v[40:41]
	v_fma_f64 v[40:41], v[34:35], s[30:31], -v[40:41]
	v_fma_f64 v[46:47], v[32:33], s[16:17], -v[42:43]
	v_fma_f64 v[42:43], v[32:33], s[16:17], v[42:43]
	v_add_f64 v[40:41], v[40:41], v[48:49]
	v_mul_f64 v[48:49], v[16:17], s[42:43]
	v_add_f64 v[44:45], v[44:45], v[50:51]
	v_add_f64 v[46:47], v[46:47], v[116:117]
	;; [unrolled: 1-line block ×3, first 2 shown]
	v_mul_f64 v[110:111], v[18:19], s[40:41]
	v_fma_f64 v[50:51], v[34:35], s[16:17], v[48:49]
	v_fma_f64 v[48:49], v[34:35], s[16:17], -v[48:49]
	v_fma_f64 v[116:117], v[32:33], s[0:1], -v[110:111]
	v_fma_f64 v[110:111], v[32:33], s[0:1], v[110:111]
	v_add_f64 v[48:49], v[48:49], v[118:119]
	v_mul_f64 v[118:119], v[16:17], s[40:41]
	v_add_f64 v[50:51], v[50:51], v[120:121]
	v_add_f64 v[116:117], v[116:117], v[124:125]
	;; [unrolled: 1-line block ×3, first 2 shown]
	v_mul_f64 v[122:123], v[18:19], s[20:21]
	v_fma_f64 v[120:121], v[34:35], s[0:1], v[118:119]
	v_fma_f64 v[118:119], v[34:35], s[0:1], -v[118:119]
	v_mul_f64 v[18:19], v[18:19], s[28:29]
	v_fma_f64 v[124:125], v[32:33], s[4:5], -v[122:123]
	v_fma_f64 v[122:123], v[32:33], s[4:5], v[122:123]
	v_add_f64 v[118:119], v[118:119], v[126:127]
	v_mul_f64 v[126:127], v[16:17], s[20:21]
	v_mul_f64 v[16:17], v[16:17], s[28:29]
	v_add_f64 v[120:121], v[120:121], v[128:129]
	v_add_f64 v[124:125], v[124:125], v[132:133]
	;; [unrolled: 1-line block ×3, first 2 shown]
	v_fma_f64 v[130:131], v[32:33], s[22:23], -v[18:19]
	v_fma_f64 v[18:19], v[32:33], s[22:23], v[18:19]
	v_fma_f64 v[132:133], v[34:35], s[22:23], v[16:17]
	v_fma_f64 v[16:17], v[34:35], s[22:23], -v[16:17]
	v_fma_f64 v[128:129], v[34:35], s[4:5], v[126:127]
	v_fma_f64 v[126:127], v[34:35], s[4:5], -v[126:127]
	v_add_f64 v[130:131], v[130:131], v[138:139]
	v_add_f64 v[18:19], v[18:19], v[26:27]
	;; [unrolled: 1-line block ×3, first 2 shown]
	v_add_f64 v[10:11], v[10:11], -v[14:15]
	v_add_f64 v[16:17], v[16:17], v[24:25]
	v_add_f64 v[24:25], v[8:9], v[12:13]
	v_add_f64 v[8:9], v[8:9], -v[12:13]
	v_add_f64 v[126:127], v[126:127], v[134:135]
	v_add_f64 v[128:129], v[128:129], v[136:137]
	;; [unrolled: 1-line block ×4, first 2 shown]
	v_mul_f64 v[12:13], v[10:11], s[24:25]
	v_add_f64 v[138:139], v[74:75], v[94:95]
	v_add_f64 v[140:141], v[78:79], v[90:91]
	v_mul_f64 v[34:35], v[8:9], s[36:37]
	v_add_f64 v[136:137], v[82:83], -v[86:87]
	v_fma_f64 v[14:15], v[24:25], s[16:17], -v[12:13]
	v_fma_f64 v[12:13], v[24:25], s[16:17], v[12:13]
	v_add_f64 v[14:15], v[14:15], v[22:23]
	v_mul_f64 v[22:23], v[8:9], s[24:25]
	v_add_f64 v[12:13], v[12:13], v[20:21]
	v_fma_f64 v[32:33], v[26:27], s[16:17], v[22:23]
	v_fma_f64 v[20:21], v[26:27], s[16:17], -v[22:23]
	v_mul_f64 v[22:23], v[10:11], s[36:37]
	v_add_f64 v[32:33], v[32:33], v[36:37]
	v_add_f64 v[20:21], v[20:21], v[28:29]
	v_fma_f64 v[28:29], v[24:25], s[22:23], -v[22:23]
	v_fma_f64 v[22:23], v[24:25], s[22:23], v[22:23]
	v_fma_f64 v[36:37], v[26:27], s[22:23], v[34:35]
	v_add_f64 v[28:29], v[28:29], v[38:39]
	v_add_f64 v[22:23], v[22:23], v[30:31]
	v_fma_f64 v[30:31], v[26:27], s[22:23], -v[34:35]
	v_mul_f64 v[34:35], v[10:11], s[40:41]
	v_add_f64 v[36:37], v[36:37], v[44:45]
	v_add_f64 v[30:31], v[30:31], v[40:41]
	v_fma_f64 v[38:39], v[24:25], s[0:1], -v[34:35]
	v_fma_f64 v[34:35], v[24:25], s[0:1], v[34:35]
	v_mul_f64 v[40:41], v[8:9], s[40:41]
	v_add_f64 v[38:39], v[38:39], v[46:47]
	v_add_f64 v[34:35], v[34:35], v[42:43]
	v_mul_f64 v[42:43], v[10:11], s[26:27]
	v_fma_f64 v[44:45], v[26:27], s[0:1], v[40:41]
	v_fma_f64 v[40:41], v[26:27], s[0:1], -v[40:41]
	v_fma_f64 v[46:47], v[24:25], s[12:13], -v[42:43]
	v_fma_f64 v[42:43], v[24:25], s[12:13], v[42:43]
	v_add_f64 v[40:41], v[40:41], v[48:49]
	v_mul_f64 v[48:49], v[8:9], s[26:27]
	v_add_f64 v[44:45], v[44:45], v[50:51]
	v_add_f64 v[46:47], v[46:47], v[116:117]
	;; [unrolled: 1-line block ×3, first 2 shown]
	v_mul_f64 v[110:111], v[10:11], s[44:45]
	v_fma_f64 v[50:51], v[26:27], s[12:13], v[48:49]
	v_fma_f64 v[48:49], v[26:27], s[12:13], -v[48:49]
	v_mul_f64 v[10:11], v[10:11], s[46:47]
	v_fma_f64 v[116:117], v[24:25], s[30:31], -v[110:111]
	v_fma_f64 v[110:111], v[24:25], s[30:31], v[110:111]
	v_add_f64 v[48:49], v[48:49], v[118:119]
	v_mul_f64 v[118:119], v[8:9], s[44:45]
	v_mul_f64 v[8:9], v[8:9], s[46:47]
	v_add_f64 v[50:51], v[50:51], v[120:121]
	v_add_f64 v[116:117], v[116:117], v[124:125]
	;; [unrolled: 1-line block ×3, first 2 shown]
	v_fma_f64 v[122:123], v[24:25], s[4:5], -v[10:11]
	v_fma_f64 v[10:11], v[24:25], s[4:5], v[10:11]
	v_fma_f64 v[124:125], v[26:27], s[4:5], v[8:9]
	v_fma_f64 v[8:9], v[26:27], s[4:5], -v[8:9]
	v_fma_f64 v[120:121], v[26:27], s[30:31], v[118:119]
	v_fma_f64 v[118:119], v[26:27], s[30:31], -v[118:119]
	v_add_f64 v[122:123], v[122:123], v[130:131]
	v_add_f64 v[10:11], v[10:11], v[18:19]
	;; [unrolled: 1-line block ×3, first 2 shown]
	v_add_f64 v[2:3], v[2:3], -v[6:7]
	v_add_f64 v[8:9], v[8:9], v[16:17]
	v_add_f64 v[16:17], v[0:1], v[4:5]
	v_add_f64 v[0:1], v[0:1], -v[4:5]
	v_add_f64 v[118:119], v[118:119], v[126:127]
	v_add_f64 v[120:121], v[120:121], v[128:129]
	;; [unrolled: 1-line block ×3, first 2 shown]
	v_add_f64 v[126:127], v[78:79], -v[90:91]
	v_mul_f64 v[4:5], v[2:3], s[28:29]
	v_add_f64 v[132:133], v[80:81], -v[84:85]
	v_mul_f64 v[26:27], v[0:1], s[38:39]
	v_fma_f64 v[6:7], v[16:17], s[22:23], -v[4:5]
	v_fma_f64 v[4:5], v[16:17], s[22:23], v[4:5]
	v_mul_f64 v[130:131], v[132:133], s[34:35]
	v_add_f64 v[6:7], v[6:7], v[14:15]
	v_mul_f64 v[14:15], v[0:1], s[28:29]
	v_add_f64 v[12:13], v[4:5], v[12:13]
	v_fma_f64 v[4:5], v[18:19], s[22:23], -v[14:15]
	v_fma_f64 v[24:25], v[18:19], s[22:23], v[14:15]
	v_add_f64 v[14:15], v[4:5], v[20:21]
	v_mul_f64 v[4:5], v[2:3], s[38:39]
	v_add_f64 v[24:25], v[24:25], v[32:33]
	v_mul_f64 v[32:33], v[0:1], s[20:21]
	v_fma_f64 v[20:21], v[16:17], s[12:13], -v[4:5]
	v_fma_f64 v[4:5], v[16:17], s[12:13], v[4:5]
	v_add_f64 v[20:21], v[20:21], v[28:29]
	v_add_f64 v[22:23], v[4:5], v[22:23]
	v_fma_f64 v[4:5], v[18:19], s[12:13], -v[26:27]
	v_fma_f64 v[28:29], v[18:19], s[12:13], v[26:27]
	v_add_f64 v[26:27], v[4:5], v[30:31]
	v_mul_f64 v[4:5], v[2:3], s[20:21]
	v_add_f64 v[28:29], v[28:29], v[36:37]
	v_fma_f64 v[36:37], v[18:19], s[4:5], v[32:33]
	v_fma_f64 v[30:31], v[16:17], s[4:5], -v[4:5]
	v_fma_f64 v[4:5], v[16:17], s[4:5], v[4:5]
	v_add_f64 v[36:37], v[36:37], v[44:45]
	v_add_f64 v[30:31], v[30:31], v[38:39]
	;; [unrolled: 1-line block ×3, first 2 shown]
	v_fma_f64 v[4:5], v[18:19], s[4:5], -v[32:33]
	v_add_f64 v[32:33], v[4:5], v[40:41]
	v_mul_f64 v[4:5], v[2:3], s[44:45]
	v_mul_f64 v[40:41], v[0:1], s[44:45]
	v_fma_f64 v[38:39], v[16:17], s[30:31], -v[4:5]
	v_fma_f64 v[4:5], v[16:17], s[30:31], v[4:5]
	v_fma_f64 v[44:45], v[18:19], s[30:31], v[40:41]
	v_add_f64 v[38:39], v[38:39], v[46:47]
	v_add_f64 v[42:43], v[4:5], v[42:43]
	v_fma_f64 v[4:5], v[18:19], s[30:31], -v[40:41]
	v_add_f64 v[44:45], v[44:45], v[50:51]
	v_add_f64 v[40:41], v[4:5], v[48:49]
	v_mul_f64 v[4:5], v[2:3], s[40:41]
	v_mul_f64 v[48:49], v[0:1], s[40:41]
	;; [unrolled: 1-line block ×4, first 2 shown]
	v_fma_f64 v[46:47], v[16:17], s[0:1], -v[4:5]
	v_fma_f64 v[4:5], v[16:17], s[0:1], v[4:5]
	v_fma_f64 v[50:51], v[18:19], s[0:1], v[48:49]
	v_add_f64 v[46:47], v[46:47], v[116:117]
	v_add_f64 v[110:111], v[4:5], v[110:111]
	v_fma_f64 v[4:5], v[18:19], s[0:1], -v[48:49]
	v_add_f64 v[50:51], v[50:51], v[120:121]
	v_add_f64 v[120:121], v[52:53], v[112:113]
	v_add_f64 v[52:53], v[52:53], -v[112:113]
	v_add_f64 v[112:113], v[72:73], -v[92:93]
	v_add_f64 v[48:49], v[4:5], v[118:119]
	v_fma_f64 v[4:5], v[16:17], s[16:17], -v[2:3]
	v_fma_f64 v[2:3], v[16:17], s[16:17], v[2:3]
	v_add_f64 v[116:117], v[4:5], v[122:123]
	v_fma_f64 v[4:5], v[18:19], s[16:17], v[0:1]
	v_fma_f64 v[0:1], v[18:19], s[16:17], -v[0:1]
	v_add_f64 v[122:123], v[54:55], v[114:115]
	v_add_f64 v[54:55], v[54:55], -v[114:115]
	v_add_f64 v[16:17], v[2:3], v[10:11]
	v_add_f64 v[118:119], v[4:5], v[124:125]
	;; [unrolled: 1-line block ×4, first 2 shown]
	v_mul_f64 v[0:1], v[54:55], s[34:35]
	v_mul_f64 v[8:9], v[54:55], s[40:41]
	v_fma_f64 v[2:3], v[120:121], s[30:31], -v[0:1]
	v_fma_f64 v[0:1], v[120:121], s[30:31], v[0:1]
	v_fma_f64 v[10:11], v[120:121], s[0:1], -v[8:9]
	v_fma_f64 v[8:9], v[120:121], s[0:1], v[8:9]
	v_add_f64 v[4:5], v[2:3], v[6:7]
	v_add_f64 v[0:1], v[0:1], v[12:13]
	;; [unrolled: 1-line block ×3, first 2 shown]
	v_mul_f64 v[20:21], v[54:55], s[28:29]
	v_add_f64 v[8:9], v[8:9], v[22:23]
	v_mul_f64 v[2:3], v[52:53], s[34:35]
	v_mul_f64 v[10:11], v[52:53], s[40:41]
	v_fma_f64 v[22:23], v[120:121], s[22:23], -v[20:21]
	v_fma_f64 v[20:21], v[120:121], s[22:23], v[20:21]
	v_fma_f64 v[6:7], v[122:123], s[30:31], v[2:3]
	v_fma_f64 v[2:3], v[122:123], s[30:31], -v[2:3]
	v_add_f64 v[146:147], v[22:23], v[30:31]
	v_mul_f64 v[22:23], v[52:53], s[28:29]
	v_add_f64 v[154:155], v[20:21], v[34:35]
	v_add_f64 v[6:7], v[6:7], v[24:25]
	;; [unrolled: 1-line block ×3, first 2 shown]
	v_fma_f64 v[14:15], v[122:123], s[0:1], v[10:11]
	v_add_f64 v[34:35], v[62:63], v[106:107]
	v_fma_f64 v[10:11], v[122:123], s[0:1], -v[10:11]
	v_fma_f64 v[20:21], v[122:123], s[22:23], -v[22:23]
	v_fma_f64 v[24:25], v[122:123], s[22:23], v[22:23]
	v_add_f64 v[14:15], v[14:15], v[28:29]
	v_add_f64 v[10:11], v[10:11], v[26:27]
	;; [unrolled: 1-line block ×3, first 2 shown]
	v_mul_f64 v[20:21], v[54:55], s[46:47]
	v_add_f64 v[148:149], v[24:25], v[36:37]
	v_add_f64 v[36:37], v[66:67], -v[102:103]
	v_add_f64 v[32:33], v[64:65], -v[100:101]
	v_fma_f64 v[22:23], v[120:121], s[4:5], -v[20:21]
	v_fma_f64 v[20:21], v[120:121], s[4:5], v[20:21]
	v_mul_f64 v[26:27], v[36:37], s[20:21]
	v_mul_f64 v[30:31], v[32:33], s[20:21]
	v_add_f64 v[158:159], v[22:23], v[38:39]
	v_mul_f64 v[22:23], v[52:53], s[46:47]
	v_add_f64 v[162:163], v[20:21], v[42:43]
	v_fma_f64 v[20:21], v[122:123], s[4:5], -v[22:23]
	v_fma_f64 v[24:25], v[122:123], s[4:5], v[22:23]
	v_add_f64 v[164:165], v[20:21], v[40:41]
	v_mul_f64 v[20:21], v[54:55], s[24:25]
	v_add_f64 v[160:161], v[24:25], v[44:45]
	v_add_f64 v[44:45], v[68:69], -v[96:97]
	v_fma_f64 v[22:23], v[120:121], s[16:17], -v[20:21]
	v_fma_f64 v[20:21], v[120:121], s[16:17], v[20:21]
	v_mul_f64 v[42:43], v[44:45], s[26:27]
	v_add_f64 v[166:167], v[22:23], v[46:47]
	v_mul_f64 v[22:23], v[52:53], s[24:25]
	v_add_f64 v[170:171], v[20:21], v[110:111]
	v_add_f64 v[46:47], v[70:71], -v[98:99]
	v_fma_f64 v[20:21], v[122:123], s[16:17], -v[22:23]
	v_fma_f64 v[24:25], v[122:123], s[16:17], v[22:23]
	v_add_f64 v[172:173], v[20:21], v[48:49]
	v_mul_f64 v[20:21], v[54:55], s[38:39]
	v_add_f64 v[168:169], v[24:25], v[50:51]
	v_mul_f64 v[54:55], v[112:113], s[24:25]
	v_fma_f64 v[22:23], v[120:121], s[12:13], -v[20:21]
	v_fma_f64 v[20:21], v[120:121], s[12:13], v[20:21]
	v_add_f64 v[174:175], v[22:23], v[116:117]
	v_mul_f64 v[22:23], v[52:53], s[38:39]
	v_add_f64 v[178:179], v[20:21], v[16:17]
	v_add_f64 v[52:53], v[62:63], -v[106:107]
	v_add_f64 v[116:117], v[74:75], -v[94:95]
	v_fma_f64 v[24:25], v[122:123], s[12:13], v[22:23]
	v_fma_f64 v[16:17], v[122:123], s[12:13], -v[22:23]
	v_add_f64 v[122:123], v[76:77], -v[88:89]
	v_add_f64 v[176:177], v[24:25], v[118:119]
	v_add_f64 v[180:181], v[16:17], v[18:19]
	;; [unrolled: 1-line block ×3, first 2 shown]
	v_add_f64 v[24:25], v[60:61], -v[104:105]
	v_mul_f64 v[18:19], v[52:53], s[18:19]
	v_mul_f64 v[118:119], v[126:127], s[28:29]
	;; [unrolled: 1-line block ×4, first 2 shown]
	v_fma_f64 v[20:21], v[16:17], s[0:1], v[18:19]
	v_add_f64 v[28:29], v[56:57], v[20:21]
	v_fma_f64 v[20:21], v[34:35], s[0:1], -v[22:23]
	v_add_f64 v[38:39], v[58:59], v[20:21]
	v_add_f64 v[20:21], v[64:65], v[100:101]
	v_fma_f64 v[40:41], v[20:21], s[4:5], v[26:27]
	v_add_f64 v[40:41], v[40:41], v[28:29]
	v_fma_f64 v[28:29], v[124:125], s[4:5], -v[30:31]
	v_add_f64 v[48:49], v[28:29], v[38:39]
	v_add_f64 v[28:29], v[68:69], v[96:97]
	v_mul_f64 v[38:39], v[46:47], s[26:27]
	v_fma_f64 v[50:51], v[28:29], s[12:13], v[38:39]
	v_add_f64 v[50:51], v[50:51], v[40:41]
	v_fma_f64 v[40:41], v[134:135], s[12:13], -v[42:43]
	v_add_f64 v[110:111], v[40:41], v[48:49]
	v_add_f64 v[40:41], v[72:73], v[92:93]
	v_mul_f64 v[48:49], v[116:117], s[24:25]
	v_fma_f64 v[114:115], v[40:41], s[16:17], v[48:49]
	v_add_f64 v[114:115], v[114:115], v[50:51]
	v_fma_f64 v[50:51], v[138:139], s[16:17], -v[54:55]
	v_add_f64 v[110:111], v[50:51], v[110:111]
	v_add_f64 v[50:51], v[76:77], v[88:89]
	v_fma_f64 v[128:129], v[50:51], s[22:23], v[118:119]
	v_add_f64 v[150:151], v[128:129], v[114:115]
	v_fma_f64 v[114:115], v[140:141], s[22:23], -v[120:121]
	v_mul_f64 v[128:129], v[136:137], s[34:35]
	v_add_f64 v[110:111], v[114:115], v[110:111]
	v_add_f64 v[114:115], v[80:81], v[84:85]
	v_fma_f64 v[182:183], v[114:115], s[30:31], v[128:129]
	v_add_f64 v[187:188], v[182:183], v[150:151]
	v_fma_f64 v[150:151], v[152:153], s[30:31], -v[130:131]
	v_add_f64 v[189:190], v[150:151], v[110:111]
	v_mul_lo_u16_e32 v110, 13, v184
	v_lshl_add_u32 v110, v110, 4, v211
	buffer_store_dword v187, off, s[52:55], 0 offset:4 ; 4-byte Folded Spill
	s_nop 0
	buffer_store_dword v188, off, s[52:55], 0 offset:8 ; 4-byte Folded Spill
	buffer_store_dword v189, off, s[52:55], 0 offset:12 ; 4-byte Folded Spill
	buffer_store_dword v190, off, s[52:55], 0 offset:16 ; 4-byte Folded Spill
	s_waitcnt lgkmcnt(0)
	; wave barrier
	buffer_store_dword v184, off, s[52:55], 0 ; 4-byte Folded Spill
	ds_write_b128 v110, v[142:145]
	ds_write_b128 v110, v[4:7] offset:16
	ds_write_b128 v110, v[12:15] offset:32
	;; [unrolled: 1-line block ×12, first 2 shown]
	v_mul_u32_u24_e32 v0, 13, v186
	buffer_store_dword v0, off, s[52:55], 0 offset:456 ; 4-byte Folded Spill
	s_and_saveexec_b64 s[48:49], vcc
	s_cbranch_execz .LBB0_7
; %bb.6:
	v_mul_f64 v[0:1], v[34:35], s[30:31]
	v_mul_f64 v[6:7], v[52:53], s[34:35]
	;; [unrolled: 1-line block ×8, first 2 shown]
	v_fma_f64 v[162:163], v[24:25], s[44:45], v[0:1]
	v_fma_f64 v[172:173], v[16:17], s[30:31], v[6:7]
	;; [unrolled: 1-line block ×4, first 2 shown]
	v_fma_f64 v[6:7], v[16:17], s[30:31], -v[6:7]
	v_fma_f64 v[180:181], v[20:21], s[0:1], v[170:171]
	v_fma_f64 v[154:155], v[32:33], s[40:41], v[154:155]
	;; [unrolled: 1-line block ×3, first 2 shown]
	v_add_f64 v[162:163], v[58:59], v[162:163]
	v_add_f64 v[172:173], v[56:57], v[172:173]
	;; [unrolled: 1-line block ×3, first 2 shown]
	v_fma_f64 v[170:171], v[20:21], s[0:1], -v[170:171]
	v_add_f64 v[6:7], v[56:57], v[6:7]
	v_fma_f64 v[182:183], v[28:29], s[22:23], v[178:179]
	v_fma_f64 v[164:165], v[44:45], s[28:29], v[164:165]
	;; [unrolled: 1-line block ×3, first 2 shown]
	v_add_f64 v[162:163], v[174:175], v[162:163]
	v_mul_f64 v[174:175], v[116:117], s[46:47]
	v_add_f64 v[172:173], v[180:181], v[172:173]
	v_add_f64 v[0:1], v[154:155], v[0:1]
	v_add_f64 v[6:7], v[170:171], v[6:7]
	v_fma_f64 v[4:5], v[112:113], s[46:47], v[4:5]
	v_mul_f64 v[160:161], v[152:153], s[12:13]
	v_fma_f64 v[166:167], v[122:123], s[42:43], v[2:3]
	v_add_f64 v[154:155], v[176:177], v[162:163]
	v_mul_f64 v[162:163], v[126:127], s[24:25]
	v_fma_f64 v[176:177], v[28:29], s[22:23], -v[178:179]
	v_fma_f64 v[170:171], v[40:41], s[4:5], v[174:175]
	v_add_f64 v[172:173], v[182:183], v[172:173]
	v_add_f64 v[0:1], v[164:165], v[0:1]
	v_mul_f64 v[164:165], v[136:137], s[38:39]
	v_fma_f64 v[2:3], v[122:123], s[24:25], v[2:3]
	v_add_f64 v[154:155], v[168:169], v[154:155]
	v_fma_f64 v[168:169], v[40:41], s[4:5], -v[174:175]
	v_add_f64 v[6:7], v[176:177], v[6:7]
	v_fma_f64 v[174:175], v[50:51], s[16:17], v[162:163]
	v_add_f64 v[170:171], v[170:171], v[172:173]
	v_add_f64 v[0:1], v[4:5], v[0:1]
	v_fma_f64 v[4:5], v[132:133], s[26:27], v[160:161]
	v_fma_f64 v[162:163], v[50:51], s[16:17], -v[162:163]
	v_add_f64 v[166:167], v[166:167], v[154:155]
	v_fma_f64 v[160:161], v[132:133], s[38:39], v[160:161]
	v_add_f64 v[6:7], v[168:169], v[6:7]
	v_fma_f64 v[168:169], v[114:115], s[12:13], v[164:165]
	v_add_f64 v[170:171], v[174:175], v[170:171]
	v_add_f64 v[172:173], v[2:3], v[0:1]
	v_mul_f64 v[174:175], v[34:35], s[22:23]
	v_fma_f64 v[164:165], v[114:115], s[12:13], -v[164:165]
	v_add_f64 v[2:3], v[4:5], v[166:167]
	v_mul_f64 v[166:167], v[124:125], s[12:13]
	v_add_f64 v[162:163], v[162:163], v[6:7]
	v_mul_f64 v[176:177], v[36:37], s[38:39]
	v_add_f64 v[0:1], v[168:169], v[170:171]
	v_add_f64 v[6:7], v[160:161], v[172:173]
	v_mul_f64 v[160:161], v[52:53], s[28:29]
	v_fma_f64 v[168:169], v[24:25], s[36:37], v[174:175]
	v_fma_f64 v[174:175], v[24:25], s[28:29], v[174:175]
	;; [unrolled: 1-line block ×3, first 2 shown]
	v_add_f64 v[4:5], v[164:165], v[162:163]
	v_mul_f64 v[164:165], v[134:135], s[4:5]
	v_mul_f64 v[182:183], v[138:139], s[30:31]
	;; [unrolled: 1-line block ×3, first 2 shown]
	v_fma_f64 v[178:179], v[16:17], s[22:23], v[160:161]
	v_add_f64 v[168:169], v[58:59], v[168:169]
	v_fma_f64 v[189:190], v[20:21], s[12:13], v[176:177]
	v_fma_f64 v[166:167], v[32:33], s[38:39], v[166:167]
	v_fma_f64 v[160:161], v[16:17], s[22:23], -v[160:161]
	v_fma_f64 v[184:185], v[44:45], s[46:47], v[164:165]
	v_mul_f64 v[191:192], v[116:117], s[44:45]
	v_fma_f64 v[193:194], v[28:29], s[4:5], v[187:188]
	v_add_f64 v[178:179], v[56:57], v[178:179]
	v_add_f64 v[168:169], v[172:173], v[168:169]
	;; [unrolled: 1-line block ×3, first 2 shown]
	v_fma_f64 v[174:175], v[112:113], s[34:35], v[182:183]
	v_fma_f64 v[164:165], v[44:45], s[20:21], v[164:165]
	v_fma_f64 v[176:177], v[20:21], s[12:13], -v[176:177]
	v_add_f64 v[160:161], v[56:57], v[160:161]
	v_mul_f64 v[170:171], v[140:141], s[0:1]
	v_add_f64 v[178:179], v[189:190], v[178:179]
	v_add_f64 v[168:169], v[184:185], v[168:169]
	;; [unrolled: 1-line block ×3, first 2 shown]
	v_mul_f64 v[172:173], v[126:127], s[40:41]
	v_fma_f64 v[184:185], v[40:41], s[30:31], v[191:192]
	v_mul_f64 v[162:163], v[152:153], s[16:17]
	v_add_f64 v[160:161], v[176:177], v[160:161]
	v_fma_f64 v[180:181], v[122:123], s[18:19], v[170:171]
	v_add_f64 v[178:179], v[193:194], v[178:179]
	v_add_f64 v[168:169], v[174:175], v[168:169]
	v_fma_f64 v[174:175], v[112:113], s[44:45], v[182:183]
	v_add_f64 v[164:165], v[164:165], v[166:167]
	v_fma_f64 v[166:167], v[28:29], s[4:5], -v[187:188]
	v_mul_f64 v[182:183], v[136:137], s[24:25]
	v_fma_f64 v[176:177], v[50:51], s[0:1], v[172:173]
	v_fma_f64 v[170:171], v[122:123], s[40:41], v[170:171]
	v_add_f64 v[178:179], v[184:185], v[178:179]
	v_fma_f64 v[184:185], v[132:133], s[42:43], v[162:163]
	v_add_f64 v[168:169], v[180:181], v[168:169]
	v_add_f64 v[164:165], v[174:175], v[164:165]
	v_fma_f64 v[174:175], v[40:41], s[30:31], -v[191:192]
	v_add_f64 v[160:161], v[166:167], v[160:161]
	v_fma_f64 v[166:167], v[114:115], s[16:17], v[182:183]
	v_mul_f64 v[180:181], v[34:35], s[16:17]
	v_add_f64 v[176:177], v[176:177], v[178:179]
	v_fma_f64 v[178:179], v[132:133], s[24:25], v[162:163]
	v_add_f64 v[162:163], v[184:185], v[168:169]
	v_add_f64 v[164:165], v[170:171], v[164:165]
	v_fma_f64 v[168:169], v[50:51], s[0:1], -v[172:173]
	v_add_f64 v[170:171], v[174:175], v[160:161]
	v_mul_f64 v[174:175], v[52:53], s[24:25]
	v_mul_f64 v[172:173], v[124:125], s[22:23]
	v_add_f64 v[160:161], v[166:167], v[176:177]
	v_fma_f64 v[176:177], v[24:25], s[42:43], v[180:181]
	v_fma_f64 v[180:181], v[24:25], s[24:25], v[180:181]
	v_add_f64 v[166:167], v[178:179], v[164:165]
	v_fma_f64 v[164:165], v[114:115], s[16:17], -v[182:183]
	v_mul_f64 v[182:183], v[36:37], s[36:37]
	v_fma_f64 v[184:185], v[16:17], s[16:17], v[174:175]
	v_mul_f64 v[178:179], v[134:135], s[0:1]
	v_add_f64 v[168:169], v[168:169], v[170:171]
	v_fma_f64 v[170:171], v[32:33], s[28:29], v[172:173]
	v_add_f64 v[176:177], v[58:59], v[176:177]
	v_mul_f64 v[193:194], v[46:47], s[40:41]
	v_mul_f64 v[189:190], v[138:139], s[12:13]
	v_fma_f64 v[195:196], v[20:21], s[22:23], v[182:183]
	v_add_f64 v[184:185], v[56:57], v[184:185]
	v_fma_f64 v[191:192], v[44:45], s[18:19], v[178:179]
	v_fma_f64 v[172:173], v[32:33], s[36:37], v[172:173]
	v_add_f64 v[180:181], v[58:59], v[180:181]
	v_add_f64 v[170:171], v[170:171], v[176:177]
	v_mul_f64 v[199:200], v[116:117], s[26:27]
	v_fma_f64 v[201:202], v[28:29], s[0:1], v[193:194]
	v_mul_f64 v[176:177], v[140:141], s[30:31]
	v_add_f64 v[184:185], v[195:196], v[184:185]
	v_fma_f64 v[197:198], v[112:113], s[38:39], v[189:190]
	v_fma_f64 v[178:179], v[44:45], s[40:41], v[178:179]
	v_fma_f64 v[174:175], v[16:17], s[16:17], -v[174:175]
	v_add_f64 v[170:171], v[191:192], v[170:171]
	v_add_f64 v[172:173], v[172:173], v[180:181]
	v_mul_f64 v[180:181], v[126:127], s[44:45]
	v_fma_f64 v[195:196], v[40:41], s[12:13], v[199:200]
	v_add_f64 v[184:185], v[201:202], v[184:185]
	v_fma_f64 v[191:192], v[122:123], s[34:35], v[176:177]
	v_fma_f64 v[189:190], v[112:113], s[26:27], v[189:190]
	v_fma_f64 v[182:183], v[20:21], s[22:23], -v[182:183]
	v_add_f64 v[170:171], v[197:198], v[170:171]
	v_add_f64 v[174:175], v[56:57], v[174:175]
	;; [unrolled: 1-line block ×3, first 2 shown]
	v_mul_f64 v[178:179], v[136:137], s[46:47]
	v_fma_f64 v[197:198], v[50:51], s[30:31], v[180:181]
	v_add_f64 v[184:185], v[195:196], v[184:185]
	v_mul_f64 v[187:188], v[152:153], s[4:5]
	v_fma_f64 v[176:177], v[122:123], s[44:45], v[176:177]
	v_fma_f64 v[193:194], v[28:29], s[0:1], -v[193:194]
	v_add_f64 v[174:175], v[182:183], v[174:175]
	v_add_f64 v[172:173], v[189:190], v[172:173]
	;; [unrolled: 1-line block ×3, first 2 shown]
	v_fma_f64 v[182:183], v[114:115], s[4:5], v[178:179]
	v_add_f64 v[184:185], v[197:198], v[184:185]
	v_mul_f64 v[191:192], v[34:35], s[12:13]
	v_fma_f64 v[195:196], v[132:133], s[20:21], v[187:188]
	v_fma_f64 v[187:188], v[132:133], s[46:47], v[187:188]
	v_fma_f64 v[189:190], v[40:41], s[12:13], -v[199:200]
	v_add_f64 v[174:175], v[193:194], v[174:175]
	v_add_f64 v[172:173], v[176:177], v[172:173]
	v_add_f64 v[164:165], v[164:165], v[168:169]
	v_add_f64 v[168:169], v[182:183], v[184:185]
	v_mul_f64 v[176:177], v[124:125], s[30:31]
	v_fma_f64 v[182:183], v[24:25], s[38:39], v[191:192]
	v_fma_f64 v[180:181], v[50:51], s[30:31], -v[180:181]
	v_fma_f64 v[191:192], v[24:25], s[26:27], v[191:192]
	v_add_f64 v[184:185], v[189:190], v[174:175]
	v_add_f64 v[174:175], v[187:188], v[172:173]
	v_mul_f64 v[172:173], v[134:135], s[16:17]
	v_mul_f64 v[187:188], v[152:153], s[22:23]
	v_fma_f64 v[189:190], v[32:33], s[44:45], v[176:177]
	v_add_f64 v[182:183], v[58:59], v[182:183]
	v_fma_f64 v[176:177], v[32:33], s[34:35], v[176:177]
	v_add_f64 v[191:192], v[58:59], v[191:192]
	v_add_f64 v[180:181], v[180:181], v[184:185]
	v_mul_f64 v[184:185], v[138:139], s[0:1]
	v_fma_f64 v[197:198], v[44:45], s[24:25], v[172:173]
	v_fma_f64 v[172:173], v[44:45], s[42:43], v[172:173]
	v_add_f64 v[170:171], v[195:196], v[170:171]
	v_add_f64 v[182:183], v[189:190], v[182:183]
	v_mul_f64 v[189:190], v[140:141], s[4:5]
	v_add_f64 v[176:177], v[176:177], v[191:192]
	v_fma_f64 v[178:179], v[114:115], s[4:5], -v[178:179]
	v_fma_f64 v[203:204], v[112:113], s[18:19], v[184:185]
	v_fma_f64 v[184:185], v[112:113], s[40:41], v[184:185]
	;; [unrolled: 1-line block ×3, first 2 shown]
	v_mul_f64 v[150:151], v[34:35], s[0:1]
	v_add_f64 v[182:183], v[197:198], v[182:183]
	v_fma_f64 v[197:198], v[122:123], s[46:47], v[189:190]
	v_add_f64 v[172:173], v[172:173], v[176:177]
	v_fma_f64 v[189:190], v[122:123], s[20:21], v[189:190]
	v_mul_f64 v[148:149], v[124:125], s[4:5]
	v_mul_f64 v[124:125], v[124:125], s[16:17]
	v_add_f64 v[62:63], v[58:59], v[62:63]
	v_add_f64 v[60:61], v[56:57], v[60:61]
	;; [unrolled: 1-line block ×3, first 2 shown]
	v_mul_f64 v[158:159], v[134:135], s[12:13]
	v_add_f64 v[184:185], v[184:185], v[172:173]
	v_add_f64 v[172:173], v[178:179], v[180:181]
	v_mul_f64 v[134:135], v[134:135], s[30:31]
	v_mul_f64 v[193:194], v[52:53], s[26:27]
	v_add_f64 v[62:63], v[62:63], v[66:67]
	v_add_f64 v[60:61], v[60:61], v[64:65]
	;; [unrolled: 1-line block ×3, first 2 shown]
	v_mul_f64 v[199:200], v[36:37], s[34:35]
	v_add_f64 v[184:185], v[189:190], v[184:185]
	v_mul_f64 v[189:190], v[34:35], s[4:5]
	v_mul_f64 v[146:147], v[16:17], s[0:1]
	v_fma_f64 v[201:202], v[16:17], s[12:13], v[193:194]
	v_fma_f64 v[193:194], v[16:17], s[12:13], -v[193:194]
	v_add_f64 v[60:61], v[60:61], v[68:69]
	v_add_f64 v[178:179], v[195:196], v[182:183]
	v_fma_f64 v[182:183], v[132:133], s[28:29], v[187:188]
	v_fma_f64 v[195:196], v[32:33], s[42:43], v[124:125]
	;; [unrolled: 1-line block ×4, first 2 shown]
	v_fma_f64 v[199:200], v[20:21], s[30:31], -v[199:200]
	v_add_f64 v[193:194], v[56:57], v[193:194]
	v_mul_f64 v[52:53], v[52:53], s[20:21]
	v_mul_f64 v[205:206], v[46:47], s[42:43]
	v_add_f64 v[34:35], v[182:183], v[184:185]
	v_fma_f64 v[184:185], v[24:25], s[46:47], v[189:190]
	v_fma_f64 v[24:25], v[24:25], s[20:21], v[189:190]
	;; [unrolled: 1-line block ×4, first 2 shown]
	v_add_f64 v[193:194], v[199:200], v[193:194]
	v_mul_f64 v[199:200], v[136:137], s[28:29]
	v_add_f64 v[201:202], v[56:57], v[201:202]
	v_mul_f64 v[36:37], v[36:37], s[24:25]
	v_add_f64 v[22:23], v[22:23], v[150:151]
	v_add_f64 v[24:25], v[58:59], v[24:25]
	v_mul_f64 v[144:145], v[20:21], s[4:5]
	v_add_f64 v[18:19], v[146:147], -v[18:19]
	v_mul_f64 v[209:210], v[116:117], s[40:41]
	v_fma_f64 v[187:188], v[114:115], s[22:23], v[199:200]
	v_fma_f64 v[182:183], v[114:115], s[22:23], -v[199:200]
	v_fma_f64 v[199:200], v[16:17], s[4:5], v[52:53]
	v_fma_f64 v[16:17], v[16:17], s[4:5], -v[52:53]
	v_add_f64 v[24:25], v[32:33], v[24:25]
	v_add_f64 v[32:33], v[62:63], v[70:71]
	v_fma_f64 v[191:192], v[28:29], s[16:17], v[205:206]
	v_add_f64 v[201:202], v[207:208], v[201:202]
	v_fma_f64 v[64:65], v[20:21], s[16:17], v[36:37]
	v_fma_f64 v[20:21], v[20:21], s[16:17], -v[36:37]
	v_add_f64 v[30:31], v[30:31], v[148:149]
	v_add_f64 v[22:23], v[58:59], v[22:23]
	;; [unrolled: 1-line block ×5, first 2 shown]
	v_mul_f64 v[156:157], v[28:29], s[12:13]
	v_add_f64 v[26:27], v[144:145], -v[26:27]
	v_add_f64 v[18:19], v[56:57], v[18:19]
	v_mul_f64 v[46:47], v[46:47], s[34:35]
	v_add_f64 v[16:17], v[56:57], v[16:17]
	v_mul_f64 v[12:13], v[138:139], s[16:17]
	v_add_f64 v[32:33], v[32:33], v[78:79]
	v_add_f64 v[44:45], v[44:45], v[76:77]
	v_fma_f64 v[176:177], v[40:41], s[0:1], v[209:210]
	v_add_f64 v[191:192], v[191:192], v[201:202]
	v_fma_f64 v[197:198], v[28:29], s[16:17], -v[205:206]
	v_add_f64 v[184:185], v[58:59], v[184:185]
	v_add_f64 v[66:67], v[56:57], v[199:200]
	;; [unrolled: 1-line block ×6, first 2 shown]
	v_mul_f64 v[10:11], v[40:41], s[16:17]
	v_add_f64 v[30:31], v[156:157], -v[38:39]
	v_add_f64 v[18:19], v[26:27], v[18:19]
	v_mul_f64 v[138:139], v[138:139], s[22:23]
	v_mul_f64 v[62:63], v[116:117], s[36:37]
	v_add_f64 v[32:33], v[32:33], v[86:87]
	v_add_f64 v[36:37], v[44:45], v[84:85]
	v_fma_f64 v[68:69], v[28:29], s[30:31], v[46:47]
	v_fma_f64 v[28:29], v[28:29], s[30:31], -v[46:47]
	v_add_f64 v[16:17], v[20:21], v[16:17]
	v_mul_f64 v[142:143], v[140:141], s[22:23]
	v_mul_f64 v[203:204], v[126:127], s[20:21]
	v_add_f64 v[176:177], v[176:177], v[191:192]
	v_add_f64 v[32:33], v[32:33], v[90:91]
	;; [unrolled: 1-line block ×3, first 2 shown]
	v_fma_f64 v[180:181], v[40:41], s[0:1], -v[209:210]
	v_add_f64 v[191:192], v[197:198], v[193:194]
	v_add_f64 v[184:185], v[195:196], v[184:185]
	;; [unrolled: 1-line block ×7, first 2 shown]
	v_mul_f64 v[8:9], v[50:51], s[22:23]
	v_add_f64 v[10:11], v[10:11], -v[48:49]
	v_add_f64 v[18:19], v[30:31], v[18:19]
	v_mul_f64 v[140:141], v[140:141], s[12:13]
	v_fma_f64 v[70:71], v[112:113], s[36:37], v[138:139]
	v_mul_f64 v[60:61], v[126:127], s[38:39]
	v_fma_f64 v[20:21], v[40:41], s[22:23], -v[62:63]
	v_add_f64 v[16:17], v[28:29], v[16:17]
	v_mul_f64 v[154:155], v[152:153], s[30:31]
	v_fma_f64 v[193:194], v[50:51], s[4:5], -v[203:204]
	v_add_f64 v[180:181], v[180:181], v[191:192]
	v_fma_f64 v[197:198], v[112:113], s[28:29], v[138:139]
	v_add_f64 v[124:125], v[189:190], v[184:185]
	v_fma_f64 v[72:73], v[40:41], s[22:23], v[62:63]
	v_add_f64 v[64:65], v[68:69], v[64:65]
	v_add_f64 v[30:31], v[120:121], v[142:143]
	;; [unrolled: 1-line block ×5, first 2 shown]
	v_mul_f64 v[14:15], v[114:115], s[30:31]
	v_add_f64 v[8:9], v[8:9], -v[118:119]
	v_add_f64 v[10:11], v[10:11], v[18:19]
	v_mul_f64 v[152:153], v[152:153], s[0:1]
	v_fma_f64 v[68:69], v[122:123], s[38:39], v[140:141]
	v_add_f64 v[24:25], v[70:71], v[24:25]
	v_mul_f64 v[70:71], v[136:137], s[40:41]
	v_fma_f64 v[28:29], v[50:51], s[12:13], -v[60:61]
	v_add_f64 v[16:17], v[20:21], v[16:17]
	v_fma_f64 v[201:202], v[50:51], s[4:5], v[203:204]
	v_add_f64 v[180:181], v[193:194], v[180:181]
	v_fma_f64 v[193:194], v[122:123], s[26:27], v[140:141]
	;; [unrolled: 2-line block ×3, first 2 shown]
	v_add_f64 v[64:65], v[72:73], v[64:65]
	v_add_f64 v[18:19], v[130:131], v[154:155]
	;; [unrolled: 1-line block ×5, first 2 shown]
	v_add_f64 v[30:31], v[14:15], -v[128:129]
	v_add_f64 v[8:9], v[8:9], v[10:11]
	v_fma_f64 v[72:73], v[132:133], s[40:41], v[152:153]
	v_add_f64 v[24:25], v[68:69], v[24:25]
	v_fma_f64 v[20:21], v[114:115], s[0:1], -v[70:71]
	v_add_f64 v[28:29], v[28:29], v[16:17]
	v_add_f64 v[176:177], v[201:202], v[176:177]
	v_fma_f64 v[191:192], v[132:133], s[18:19], v[152:153]
	v_add_f64 v[66:67], v[193:194], v[66:67]
	v_fma_f64 v[36:37], v[114:115], s[0:1], v[70:71]
	v_add_f64 v[38:39], v[74:75], v[64:65]
	v_add_f64 v[14:15], v[18:19], v[12:13]
	;; [unrolled: 1-line block ×8, first 2 shown]
	v_mul_u32_u24_e32 v24, 13, v186
	v_lshl_add_u32 v24, v24, 4, v211
	v_add_f64 v[176:177], v[187:188], v[176:177]
	v_add_f64 v[22:23], v[191:192], v[66:67]
	;; [unrolled: 1-line block ×3, first 2 shown]
	ds_write_b128 v24, v[16:19]
	ds_write_b128 v24, v[12:15] offset:16
	ds_write_b128 v24, v[8:11] offset:32
	;; [unrolled: 1-line block ×11, first 2 shown]
	buffer_load_dword v0, off, s[52:55], 0 offset:4 ; 4-byte Folded Reload
	buffer_load_dword v1, off, s[52:55], 0 offset:8 ; 4-byte Folded Reload
	;; [unrolled: 1-line block ×4, first 2 shown]
	s_waitcnt vmcnt(0)
	ds_write_b128 v24, v[0:3] offset:192
.LBB0_7:
	s_or_b64 exec, exec, s[48:49]
	s_waitcnt lgkmcnt(0)
	; wave barrier
	s_waitcnt lgkmcnt(0)
	ds_read_b128 v[128:131], v108
	ds_read_b128 v[40:43], v108 offset:1040
	ds_read_b128 v[44:47], v108 offset:2080
	ds_read_b128 v[48:51], v108 offset:3120
	ds_read_b128 v[52:55], v108 offset:4160
	ds_read_b128 v[4:7], v108 offset:208
	ds_read_b128 v[72:75], v108 offset:1248
	ds_read_b128 v[85:88], v108 offset:2288
	ds_read_b128 v[89:92], v108 offset:3328
	ds_read_b128 v[93:96], v108 offset:4368
	buffer_load_dword v105, off, s[52:55], 0 ; 4-byte Folded Reload
	ds_read_b128 v[0:3], v108 offset:416
	ds_read_b128 v[97:100], v108 offset:1456
	;; [unrolled: 1-line block ×15, first 2 shown]
	s_mov_b32 s18, 0x134454ff
	s_mov_b32 s19, 0x3fee6f0e
	;; [unrolled: 1-line block ×8, first 2 shown]
	s_add_u32 s4, s6, 0x1450
	s_addc_u32 s5, s7, 0
	s_waitcnt vmcnt(0)
	v_lshlrev_b32_e32 v84, 6, v105
	global_load_dwordx4 v[56:59], v84, s[2:3] offset:48
	global_load_dwordx4 v[60:63], v84, s[2:3] offset:32
	;; [unrolled: 1-line block ×3, first 2 shown]
	global_load_dwordx4 v[68:71], v84, s[2:3]
	v_add_co_u32_e64 v189, s[0:1], 26, v105
	v_add_co_u32_e64 v188, s[0:1], 39, v105
	;; [unrolled: 1-line block ×3, first 2 shown]
	s_movk_i32 s0, 0x4f
	s_waitcnt vmcnt(0) lgkmcnt(14)
	v_mul_f64 v[76:77], v[42:43], v[70:71]
	v_fma_f64 v[76:77], v[40:41], v[68:69], -v[76:77]
	v_mul_f64 v[40:41], v[40:41], v[70:71]
	v_fma_f64 v[134:135], v[42:43], v[68:69], v[40:41]
	v_mul_f64 v[40:41], v[46:47], v[66:67]
	v_mul_f64 v[42:43], v[87:88], v[66:67]
	v_fma_f64 v[78:79], v[44:45], v[64:65], -v[40:41]
	v_mul_f64 v[40:41], v[44:45], v[66:67]
	v_fma_f64 v[138:139], v[85:86], v[64:65], -v[42:43]
	v_mul_f64 v[42:43], v[85:86], v[66:67]
	v_fma_f64 v[136:137], v[46:47], v[64:65], v[40:41]
	v_mul_f64 v[40:41], v[50:51], v[62:63]
	v_fma_f64 v[142:143], v[87:88], v[64:65], v[42:43]
	v_mul_f64 v[42:43], v[91:92], v[62:63]
	v_fma_f64 v[80:81], v[48:49], v[60:61], -v[40:41]
	v_mul_f64 v[40:41], v[48:49], v[62:63]
	v_fma_f64 v[140:141], v[50:51], v[60:61], v[40:41]
	v_mul_f64 v[40:41], v[54:55], v[58:59]
	v_fma_f64 v[82:83], v[52:53], v[56:57], -v[40:41]
	;; [unrolled: 4-line block ×3, first 2 shown]
	v_mul_f64 v[40:41], v[72:73], v[70:71]
	v_fma_f64 v[72:73], v[89:90], v[60:61], -v[42:43]
	v_mul_f64 v[42:43], v[89:90], v[62:63]
	v_fma_f64 v[40:41], v[74:75], v[68:69], v[40:41]
	v_fma_f64 v[152:153], v[91:92], v[60:61], v[42:43]
	v_mul_f64 v[42:43], v[95:96], v[58:59]
	v_fma_f64 v[74:75], v[93:94], v[56:57], -v[42:43]
	v_mul_f64 v[42:43], v[93:94], v[58:59]
	v_fma_f64 v[182:183], v[95:96], v[56:57], v[42:43]
	v_mul_lo_u16_sdwa v42, v189, s0 dst_sel:DWORD dst_unused:UNUSED_PAD src0_sel:BYTE_0 src1_sel:DWORD
	v_lshrrev_b16_e32 v42, 10, v42
	v_mul_lo_u16_e32 v42, 13, v42
	v_sub_u16_e32 v85, v189, v42
	v_lshlrev_b16_e32 v42, 2, v85
	v_and_b32_e32 v42, 0xfc, v42
	v_lshlrev_b32_e32 v42, 4, v42
	global_load_dwordx4 v[88:91], v42, s[2:3] offset:48
	global_load_dwordx4 v[92:95], v42, s[2:3] offset:32
	;; [unrolled: 1-line block ×3, first 2 shown]
	global_load_dwordx4 v[44:47], v42, s[2:3]
	s_waitcnt vmcnt(3) lgkmcnt(10)
	v_mul_f64 v[86:87], v[117:118], v[90:91]
	s_waitcnt vmcnt(0)
	v_mul_f64 v[42:43], v[99:100], v[46:47]
	v_fma_f64 v[148:149], v[115:116], v[88:89], -v[86:87]
	v_mul_f64 v[86:87], v[115:116], v[90:91]
	v_fma_f64 v[50:51], v[97:98], v[44:45], -v[42:43]
	v_mul_f64 v[42:43], v[97:98], v[46:47]
	buffer_store_dword v44, off, s[52:55], 0 offset:292 ; 4-byte Folded Spill
	s_nop 0
	buffer_store_dword v45, off, s[52:55], 0 offset:296 ; 4-byte Folded Spill
	buffer_store_dword v46, off, s[52:55], 0 offset:300 ; 4-byte Folded Spill
	;; [unrolled: 1-line block ×3, first 2 shown]
	v_mul_f64 v[46:47], v[113:114], v[94:95]
	v_fma_f64 v[54:55], v[111:112], v[92:93], -v[46:47]
	v_mul_f64 v[46:47], v[111:112], v[94:95]
	v_fma_f64 v[42:43], v[99:100], v[44:45], v[42:43]
	v_mul_f64 v[44:45], v[103:104], v[146:147]
	v_fma_f64 v[52:53], v[101:102], v[144:145], -v[44:45]
	v_mul_f64 v[44:45], v[101:102], v[146:147]
	buffer_store_dword v144, off, s[52:55], 0 offset:276 ; 4-byte Folded Spill
	s_nop 0
	buffer_store_dword v145, off, s[52:55], 0 offset:280 ; 4-byte Folded Spill
	buffer_store_dword v146, off, s[52:55], 0 offset:284 ; 4-byte Folded Spill
	buffer_store_dword v147, off, s[52:55], 0 offset:288 ; 4-byte Folded Spill
	buffer_store_dword v92, off, s[52:55], 0 offset:260 ; 4-byte Folded Spill
	s_nop 0
	buffer_store_dword v93, off, s[52:55], 0 offset:264 ; 4-byte Folded Spill
	buffer_store_dword v94, off, s[52:55], 0 offset:268 ; 4-byte Folded Spill
	buffer_store_dword v95, off, s[52:55], 0 offset:272 ; 4-byte Folded Spill
	;; [unrolled: 5-line block ×3, first 2 shown]
	v_fma_f64 v[44:45], v[103:104], v[144:145], v[44:45]
	v_fma_f64 v[46:47], v[113:114], v[92:93], v[46:47]
	;; [unrolled: 1-line block ×3, first 2 shown]
	v_mul_lo_u16_sdwa v86, v188, s0 dst_sel:DWORD dst_unused:UNUSED_PAD src0_sel:BYTE_0 src1_sel:DWORD
	v_lshrrev_b16_e32 v86, 10, v86
	v_mul_lo_u16_e32 v86, 13, v86
	v_sub_u16_e32 v86, v188, v86
	v_lshlrev_b16_e32 v87, 2, v86
	v_and_b32_e32 v87, 0xfc, v87
	v_lshlrev_b32_e32 v87, 4, v87
	global_load_dwordx4 v[116:119], v87, s[2:3] offset:48
	global_load_dwordx4 v[89:92], v87, s[2:3] offset:32
	;; [unrolled: 1-line block ×3, first 2 shown]
	global_load_dwordx4 v[97:100], v87, s[2:3]
	s_waitcnt vmcnt(0) lgkmcnt(8)
	v_mul_f64 v[87:88], v[38:39], v[99:100]
	v_fma_f64 v[146:147], v[36:37], v[97:98], -v[87:88]
	v_mul_f64 v[36:37], v[36:37], v[99:100]
	buffer_store_dword v97, off, s[52:55], 0 offset:356 ; 4-byte Folded Spill
	s_nop 0
	buffer_store_dword v98, off, s[52:55], 0 offset:360 ; 4-byte Folded Spill
	buffer_store_dword v99, off, s[52:55], 0 offset:364 ; 4-byte Folded Spill
	;; [unrolled: 1-line block ×3, first 2 shown]
	v_fma_f64 v[154:155], v[38:39], v[97:98], v[36:37]
	s_waitcnt lgkmcnt(7)
	v_mul_f64 v[36:37], v[34:35], v[95:96]
	v_add_f64 v[38:39], v[44:45], -v[46:47]
	v_fma_f64 v[150:151], v[32:33], v[93:94], -v[36:37]
	v_mul_f64 v[32:33], v[32:33], v[95:96]
	buffer_store_dword v93, off, s[52:55], 0 offset:324 ; 4-byte Folded Spill
	s_nop 0
	buffer_store_dword v94, off, s[52:55], 0 offset:328 ; 4-byte Folded Spill
	buffer_store_dword v95, off, s[52:55], 0 offset:332 ; 4-byte Folded Spill
	;; [unrolled: 1-line block ×3, first 2 shown]
	v_mov_b32_e32 v96, v211
	v_fma_f64 v[156:157], v[34:35], v[93:94], v[32:33]
	s_waitcnt lgkmcnt(6)
	v_mul_f64 v[32:33], v[30:31], v[91:92]
	v_fma_f64 v[170:171], v[28:29], v[89:90], -v[32:33]
	v_mul_f64 v[28:29], v[28:29], v[91:92]
	buffer_store_dword v89, off, s[52:55], 0 offset:308 ; 4-byte Folded Spill
	s_nop 0
	buffer_store_dword v90, off, s[52:55], 0 offset:312 ; 4-byte Folded Spill
	buffer_store_dword v91, off, s[52:55], 0 offset:316 ; 4-byte Folded Spill
	;; [unrolled: 1-line block ×3, first 2 shown]
	v_fma_f64 v[158:159], v[30:31], v[89:90], v[28:29]
	s_waitcnt lgkmcnt(5)
	v_mul_f64 v[28:29], v[26:27], v[118:119]
	v_fma_f64 v[172:173], v[24:25], v[116:117], -v[28:29]
	v_mul_f64 v[24:25], v[24:25], v[118:119]
	v_fma_f64 v[160:161], v[26:27], v[116:117], v[24:25]
	v_mul_lo_u16_sdwa v24, v187, s0 dst_sel:DWORD dst_unused:UNUSED_PAD src0_sel:BYTE_0 src1_sel:DWORD
	v_lshrrev_b16_e32 v24, 10, v24
	v_mul_lo_u16_e32 v24, 13, v24
	v_sub_u16_e32 v87, v187, v24
	v_lshlrev_b16_e32 v24, 2, v87
	v_and_b32_e32 v24, 0xfc, v24
	v_lshlrev_b32_e32 v24, 4, v24
	global_load_dwordx4 v[26:29], v24, s[2:3] offset:48
	global_load_dwordx4 v[30:33], v24, s[2:3] offset:32
	global_load_dwordx4 v[34:37], v24, s[2:3] offset:16
	global_load_dwordx4 v[88:91], v24, s[2:3]
	s_mov_b32 s0, 0x372fe950
	s_mov_b32 s1, 0x3fd3c6ef
	s_waitcnt vmcnt(0) lgkmcnt(3)
	v_mul_f64 v[24:25], v[22:23], v[90:91]
	v_fma_f64 v[174:175], v[20:21], v[88:89], -v[24:25]
	v_mul_f64 v[20:21], v[20:21], v[90:91]
	buffer_store_dword v88, off, s[52:55], 0 offset:404 ; 4-byte Folded Spill
	s_nop 0
	buffer_store_dword v89, off, s[52:55], 0 offset:408 ; 4-byte Folded Spill
	buffer_store_dword v90, off, s[52:55], 0 offset:412 ; 4-byte Folded Spill
	;; [unrolled: 1-line block ×3, first 2 shown]
	v_add_f64 v[24:25], v[80:81], -v[82:83]
	v_fma_f64 v[162:163], v[22:23], v[88:89], v[20:21]
	s_waitcnt lgkmcnt(2)
	v_mul_f64 v[20:21], v[18:19], v[36:37]
	v_add_f64 v[22:23], v[78:79], -v[76:77]
	v_fma_f64 v[176:177], v[16:17], v[34:35], -v[20:21]
	v_mul_f64 v[16:17], v[16:17], v[36:37]
	buffer_store_dword v34, off, s[52:55], 0 offset:388 ; 4-byte Folded Spill
	s_nop 0
	buffer_store_dword v35, off, s[52:55], 0 offset:392 ; 4-byte Folded Spill
	buffer_store_dword v36, off, s[52:55], 0 offset:396 ; 4-byte Folded Spill
	;; [unrolled: 1-line block ×3, first 2 shown]
	v_add_f64 v[20:21], v[82:83], -v[80:81]
	v_add_f64 v[22:23], v[22:23], v[24:25]
	v_add_f64 v[24:25], v[134:135], -v[136:137]
	v_add_f64 v[36:37], v[182:183], -v[152:153]
	v_fma_f64 v[164:165], v[18:19], v[34:35], v[16:17]
	s_waitcnt lgkmcnt(1)
	v_mul_f64 v[16:17], v[14:15], v[32:33]
	v_add_f64 v[18:19], v[136:137], -v[140:141]
	v_add_f64 v[34:35], v[40:41], -v[142:143]
	;; [unrolled: 1-line block ×3, first 2 shown]
	v_fma_f64 v[178:179], v[12:13], v[30:31], -v[16:17]
	v_mul_f64 v[12:13], v[12:13], v[32:33]
	buffer_store_dword v30, off, s[52:55], 0 offset:372 ; 4-byte Folded Spill
	s_nop 0
	buffer_store_dword v31, off, s[52:55], 0 offset:376 ; 4-byte Folded Spill
	buffer_store_dword v32, off, s[52:55], 0 offset:380 ; 4-byte Folded Spill
	;; [unrolled: 1-line block ×3, first 2 shown]
	v_add_f64 v[16:17], v[76:77], -v[78:79]
	v_add_f64 v[32:33], v[74:75], -v[72:73]
	v_add_f64 v[34:35], v[34:35], v[36:37]
	v_add_f64 v[36:37], v[152:153], -v[182:183]
	v_add_f64 v[88:89], v[176:177], -v[178:179]
	v_add_f64 v[20:21], v[16:17], v[20:21]
	v_fma_f64 v[166:167], v[14:15], v[30:31], v[12:13]
	s_waitcnt lgkmcnt(0)
	v_mul_f64 v[12:13], v[10:11], v[28:29]
	v_add_f64 v[14:15], v[134:135], -v[184:185]
	v_add_f64 v[30:31], v[140:141], -v[184:185]
	v_fma_f64 v[180:181], v[8:9], v[26:27], -v[12:13]
	v_mul_f64 v[8:9], v[8:9], v[28:29]
	buffer_store_dword v26, off, s[52:55], 0 offset:340 ; 4-byte Folded Spill
	s_nop 0
	buffer_store_dword v27, off, s[52:55], 0 offset:344 ; 4-byte Folded Spill
	buffer_store_dword v28, off, s[52:55], 0 offset:348 ; 4-byte Folded Spill
	;; [unrolled: 1-line block ×3, first 2 shown]
	v_add_f64 v[28:29], v[136:137], -v[134:135]
	s_waitcnt lgkmcnt(0)
	; wave barrier
	v_add_f64 v[28:29], v[28:29], v[30:31]
	v_add_f64 v[30:31], v[48:49], -v[138:139]
	v_add_f64 v[30:31], v[30:31], v[32:33]
	v_add_f64 v[32:33], v[72:73], -v[74:75]
	v_fma_f64 v[168:169], v[10:11], v[26:27], v[8:9]
	v_add_f64 v[10:11], v[78:79], v[80:81]
	v_add_f64 v[8:9], v[128:129], v[76:77]
	v_add_f64 v[26:27], v[184:185], -v[140:141]
	v_add_f64 v[90:91], v[168:169], -v[166:167]
	v_fma_f64 v[10:11], v[10:11], -0.5, v[128:129]
	v_add_f64 v[8:9], v[8:9], v[78:79]
	v_add_f64 v[24:25], v[24:25], v[26:27]
	v_add_f64 v[94:95], v[166:167], -v[168:169]
	v_fma_f64 v[12:13], v[14:15], s[18:19], v[10:11]
	v_fma_f64 v[10:11], v[14:15], s[16:17], v[10:11]
	v_add_f64 v[8:9], v[8:9], v[80:81]
	v_add_f64 v[92:93], v[92:93], v[94:95]
	v_fma_f64 v[12:13], v[18:19], s[12:13], v[12:13]
	v_fma_f64 v[10:11], v[18:19], s[20:21], v[10:11]
	v_add_f64 v[8:9], v[8:9], v[82:83]
	v_fma_f64 v[16:17], v[20:21], s[0:1], v[12:13]
	v_fma_f64 v[12:13], v[20:21], s[0:1], v[10:11]
	v_add_f64 v[10:11], v[76:77], v[82:83]
	v_fma_f64 v[10:11], v[10:11], -0.5, v[128:129]
	v_fma_f64 v[20:21], v[18:19], s[16:17], v[10:11]
	v_fma_f64 v[10:11], v[18:19], s[18:19], v[10:11]
	;; [unrolled: 1-line block ×4, first 2 shown]
	v_add_f64 v[14:15], v[136:137], v[140:141]
	v_fma_f64 v[132:133], v[22:23], s[0:1], v[20:21]
	v_add_f64 v[20:21], v[76:77], -v[82:83]
	v_fma_f64 v[14:15], v[14:15], -0.5, v[130:131]
	v_fma_f64 v[128:129], v[22:23], s[0:1], v[10:11]
	v_add_f64 v[22:23], v[78:79], -v[80:81]
	v_add_f64 v[10:11], v[130:131], v[134:135]
	v_add_f64 v[76:77], v[180:181], -v[178:179]
	v_add_f64 v[78:79], v[176:177], -v[174:175]
	;; [unrolled: 1-line block ×4, first 2 shown]
	v_fma_f64 v[18:19], v[20:21], s[16:17], v[14:15]
	v_fma_f64 v[14:15], v[20:21], s[18:19], v[14:15]
	v_add_f64 v[10:11], v[10:11], v[136:137]
	v_add_f64 v[78:79], v[78:79], v[80:81]
	v_fma_f64 v[18:19], v[22:23], s[20:21], v[18:19]
	v_fma_f64 v[14:15], v[22:23], s[12:13], v[14:15]
	v_add_f64 v[10:11], v[10:11], v[140:141]
	v_fma_f64 v[18:19], v[24:25], s[0:1], v[18:19]
	v_fma_f64 v[14:15], v[24:25], s[0:1], v[14:15]
	v_add_f64 v[24:25], v[134:135], v[184:185]
	v_add_f64 v[10:11], v[10:11], v[184:185]
	v_fma_f64 v[24:25], v[24:25], -0.5, v[130:131]
	v_fma_f64 v[26:27], v[22:23], s[18:19], v[24:25]
	v_fma_f64 v[22:23], v[22:23], s[16:17], v[24:25]
	;; [unrolled: 1-line block ×4, first 2 shown]
	v_add_f64 v[22:23], v[138:139], v[72:73]
	v_fma_f64 v[134:135], v[28:29], s[0:1], v[26:27]
	v_add_f64 v[26:27], v[40:41], -v[182:183]
	v_fma_f64 v[22:23], v[22:23], -0.5, v[4:5]
	v_fma_f64 v[130:131], v[28:29], s[0:1], v[20:21]
	v_add_f64 v[28:29], v[142:143], -v[152:153]
	v_add_f64 v[20:21], v[4:5], v[48:49]
	v_fma_f64 v[24:25], v[26:27], s[18:19], v[22:23]
	v_fma_f64 v[22:23], v[26:27], s[16:17], v[22:23]
	v_add_f64 v[20:21], v[20:21], v[138:139]
	v_fma_f64 v[24:25], v[28:29], s[12:13], v[24:25]
	v_fma_f64 v[22:23], v[28:29], s[20:21], v[22:23]
	;; [unrolled: 3-line block ×3, first 2 shown]
	v_add_f64 v[22:23], v[48:49], v[74:75]
	v_add_f64 v[30:31], v[138:139], -v[48:49]
	v_add_f64 v[20:21], v[20:21], v[74:75]
	v_fma_f64 v[4:5], v[22:23], -0.5, v[4:5]
	v_add_f64 v[30:31], v[30:31], v[32:33]
	v_add_f64 v[32:33], v[138:139], -v[72:73]
	v_add_f64 v[72:73], v[172:173], -v[170:171]
	v_fma_f64 v[22:23], v[28:29], s[16:17], v[4:5]
	v_fma_f64 v[4:5], v[28:29], s[18:19], v[4:5]
	v_add_f64 v[28:29], v[48:49], -v[74:75]
	v_add_f64 v[48:49], v[54:55], -v[148:149]
	;; [unrolled: 1-line block ×3, first 2 shown]
	v_fma_f64 v[22:23], v[26:27], s[12:13], v[22:23]
	v_fma_f64 v[4:5], v[26:27], s[20:21], v[4:5]
	v_add_f64 v[26:27], v[142:143], v[152:153]
	v_fma_f64 v[140:141], v[30:31], s[0:1], v[22:23]
	v_fma_f64 v[4:5], v[30:31], s[0:1], v[4:5]
	v_fma_f64 v[26:27], v[26:27], -0.5, v[6:7]
	v_add_f64 v[22:23], v[6:7], v[40:41]
	v_fma_f64 v[30:31], v[28:29], s[16:17], v[26:27]
	v_fma_f64 v[26:27], v[28:29], s[18:19], v[26:27]
	v_add_f64 v[22:23], v[22:23], v[142:143]
	v_fma_f64 v[30:31], v[32:33], s[20:21], v[30:31]
	v_fma_f64 v[26:27], v[32:33], s[12:13], v[26:27]
	v_add_f64 v[22:23], v[22:23], v[152:153]
	v_fma_f64 v[138:139], v[34:35], s[0:1], v[30:31]
	v_add_f64 v[30:31], v[40:41], v[182:183]
	v_fma_f64 v[26:27], v[34:35], s[0:1], v[26:27]
	v_add_f64 v[34:35], v[142:143], -v[40:41]
	v_add_f64 v[40:41], v[148:149], -v[54:55]
	v_add_f64 v[22:23], v[22:23], v[182:183]
	v_fma_f64 v[6:7], v[30:31], -0.5, v[6:7]
	v_add_f64 v[34:35], v[34:35], v[36:37]
	v_add_f64 v[36:37], v[50:51], -v[52:53]
	v_fma_f64 v[30:31], v[32:33], s[18:19], v[6:7]
	v_fma_f64 v[6:7], v[32:33], s[16:17], v[6:7]
	v_add_f64 v[40:41], v[36:37], v[40:41]
	v_fma_f64 v[30:31], v[28:29], s[20:21], v[30:31]
	v_fma_f64 v[6:7], v[28:29], s[12:13], v[6:7]
	v_add_f64 v[28:29], v[0:1], v[50:51]
	v_fma_f64 v[142:143], v[34:35], s[0:1], v[30:31]
	v_add_f64 v[30:31], v[52:53], v[54:55]
	v_fma_f64 v[6:7], v[34:35], s[0:1], v[6:7]
	v_add_f64 v[34:35], v[42:43], -v[144:145]
	v_add_f64 v[28:29], v[28:29], v[52:53]
	ds_write_b128 v108, v[8:11]
	ds_write_b128 v108, v[16:19] offset:208
	ds_write_b128 v108, v[132:135] offset:416
	;; [unrolled: 1-line block ×9, first 2 shown]
	v_and_b32_e32 v4, 0xff, v85
	v_lshl_add_u32 v136, v4, 4, v211
	v_fma_f64 v[30:31], v[30:31], -0.5, v[0:1]
	v_add_f64 v[28:29], v[28:29], v[54:55]
	v_fma_f64 v[32:33], v[34:35], s[18:19], v[30:31]
	v_fma_f64 v[30:31], v[34:35], s[16:17], v[30:31]
	v_add_f64 v[28:29], v[28:29], v[148:149]
	v_fma_f64 v[32:33], v[38:39], s[12:13], v[32:33]
	v_fma_f64 v[30:31], v[38:39], s[20:21], v[30:31]
	;; [unrolled: 1-line block ×4, first 2 shown]
	v_add_f64 v[30:31], v[50:51], v[148:149]
	v_add_f64 v[40:41], v[52:53], -v[50:51]
	v_fma_f64 v[0:1], v[30:31], -0.5, v[0:1]
	v_add_f64 v[48:49], v[40:41], v[48:49]
	v_fma_f64 v[30:31], v[38:39], s[16:17], v[0:1]
	v_fma_f64 v[0:1], v[38:39], s[18:19], v[0:1]
	;; [unrolled: 1-line block ×4, first 2 shown]
	v_add_f64 v[34:35], v[44:45], v[46:47]
	v_fma_f64 v[40:41], v[48:49], s[0:1], v[30:31]
	v_fma_f64 v[0:1], v[48:49], s[0:1], v[0:1]
	v_fma_f64 v[34:35], v[34:35], -0.5, v[2:3]
	v_add_f64 v[48:49], v[50:51], -v[148:149]
	v_add_f64 v[50:51], v[52:53], -v[54:55]
	v_add_f64 v[52:53], v[42:43], -v[44:45]
	v_add_f64 v[54:55], v[144:145], -v[46:47]
	v_add_f64 v[30:31], v[2:3], v[42:43]
	v_fma_f64 v[38:39], v[48:49], s[16:17], v[34:35]
	v_fma_f64 v[34:35], v[48:49], s[18:19], v[34:35]
	v_add_f64 v[52:53], v[52:53], v[54:55]
	v_add_f64 v[30:31], v[30:31], v[44:45]
	v_add_f64 v[54:55], v[146:147], -v[150:151]
	v_fma_f64 v[38:39], v[50:51], s[20:21], v[38:39]
	v_fma_f64 v[34:35], v[50:51], s[12:13], v[34:35]
	v_add_f64 v[30:31], v[30:31], v[46:47]
	v_add_f64 v[54:55], v[54:55], v[72:73]
	v_add_f64 v[72:73], v[170:171], -v[172:173]
	v_fma_f64 v[38:39], v[52:53], s[0:1], v[38:39]
	v_fma_f64 v[34:35], v[52:53], s[0:1], v[34:35]
	v_add_f64 v[52:53], v[42:43], v[144:145]
	v_add_f64 v[42:43], v[44:45], -v[42:43]
	v_add_f64 v[44:45], v[46:47], -v[144:145]
	v_add_f64 v[46:47], v[150:151], v[170:171]
	v_add_f64 v[30:31], v[30:31], v[144:145]
	v_fma_f64 v[2:3], v[52:53], -0.5, v[2:3]
	v_add_f64 v[44:45], v[42:43], v[44:45]
	v_fma_f64 v[46:47], v[46:47], -0.5, v[124:125]
	v_fma_f64 v[52:53], v[50:51], s[18:19], v[2:3]
	v_fma_f64 v[2:3], v[50:51], s[16:17], v[2:3]
	;; [unrolled: 1-line block ×4, first 2 shown]
	v_add_f64 v[48:49], v[154:155], -v[160:161]
	v_fma_f64 v[42:43], v[44:45], s[0:1], v[52:53]
	v_add_f64 v[52:53], v[156:157], -v[158:159]
	v_fma_f64 v[50:51], v[48:49], s[18:19], v[46:47]
	v_fma_f64 v[46:47], v[48:49], s[16:17], v[46:47]
	;; [unrolled: 1-line block ×3, first 2 shown]
	v_add_f64 v[44:45], v[124:125], v[146:147]
	ds_write_b128 v136, v[28:31] offset:2080
	ds_write_b128 v136, v[36:39] offset:2288
	;; [unrolled: 1-line block ×5, first 2 shown]
	v_fma_f64 v[50:51], v[52:53], s[12:13], v[50:51]
	v_fma_f64 v[46:47], v[52:53], s[20:21], v[46:47]
	v_and_b32_e32 v0, 0xff, v86
	v_add_f64 v[44:45], v[44:45], v[150:151]
	v_lshl_add_u32 v137, v0, 4, v211
	v_and_b32_e32 v0, 0xff, v87
	v_lshl_add_u32 v113, v0, 4, v211
	v_fma_f64 v[148:149], v[54:55], s[0:1], v[50:51]
	v_fma_f64 v[144:145], v[54:55], s[0:1], v[46:47]
	v_add_f64 v[46:47], v[146:147], v[172:173]
	v_add_f64 v[54:55], v[150:151], -v[146:147]
	v_add_f64 v[44:45], v[44:45], v[170:171]
	v_fma_f64 v[46:47], v[46:47], -0.5, v[124:125]
	v_add_f64 v[54:55], v[54:55], v[72:73]
	v_add_f64 v[72:73], v[154:155], -v[156:157]
	v_add_f64 v[44:45], v[44:45], v[172:173]
	v_fma_f64 v[50:51], v[52:53], s[16:17], v[46:47]
	v_fma_f64 v[46:47], v[52:53], s[18:19], v[46:47]
	v_add_f64 v[72:73], v[72:73], v[74:75]
	v_add_f64 v[74:75], v[158:159], -v[160:161]
	v_fma_f64 v[50:51], v[48:49], s[12:13], v[50:51]
	v_fma_f64 v[46:47], v[48:49], s[20:21], v[46:47]
	v_add_f64 v[48:49], v[156:157], v[158:159]
	v_fma_f64 v[152:153], v[54:55], s[0:1], v[50:51]
	v_add_f64 v[50:51], v[146:147], -v[172:173]
	v_fma_f64 v[48:49], v[48:49], -0.5, v[126:127]
	v_fma_f64 v[124:125], v[54:55], s[0:1], v[46:47]
	v_add_f64 v[54:55], v[150:151], -v[170:171]
	v_add_f64 v[46:47], v[126:127], v[154:155]
	v_fma_f64 v[52:53], v[50:51], s[16:17], v[48:49]
	v_fma_f64 v[48:49], v[50:51], s[18:19], v[48:49]
	v_add_f64 v[46:47], v[46:47], v[156:157]
	v_fma_f64 v[52:53], v[54:55], s[20:21], v[52:53]
	v_fma_f64 v[48:49], v[54:55], s[12:13], v[48:49]
	v_add_f64 v[46:47], v[46:47], v[158:159]
	v_fma_f64 v[150:151], v[72:73], s[0:1], v[52:53]
	v_fma_f64 v[146:147], v[72:73], s[0:1], v[48:49]
	v_add_f64 v[48:49], v[154:155], v[160:161]
	v_add_f64 v[72:73], v[156:157], -v[154:155]
	v_add_f64 v[46:47], v[46:47], v[160:161]
	v_fma_f64 v[48:49], v[48:49], -0.5, v[126:127]
	v_add_f64 v[72:73], v[72:73], v[74:75]
	v_add_f64 v[74:75], v[164:165], -v[166:167]
	v_fma_f64 v[52:53], v[54:55], s[18:19], v[48:49]
	v_fma_f64 v[48:49], v[54:55], s[16:17], v[48:49]
	v_add_f64 v[54:55], v[162:163], -v[168:169]
	v_fma_f64 v[52:53], v[50:51], s[20:21], v[52:53]
	v_fma_f64 v[48:49], v[50:51], s[12:13], v[48:49]
	v_add_f64 v[50:51], v[176:177], v[178:179]
	v_fma_f64 v[154:155], v[72:73], s[0:1], v[52:53]
	v_fma_f64 v[126:127], v[72:73], s[0:1], v[48:49]
	v_fma_f64 v[50:51], v[50:51], -0.5, v[120:121]
	v_add_f64 v[72:73], v[174:175], -v[176:177]
	v_add_f64 v[48:49], v[120:121], v[174:175]
	ds_write_b128 v137, v[44:47] offset:3120
	ds_write_b128 v137, v[148:151] offset:3328
	;; [unrolled: 1-line block ×5, first 2 shown]
	v_fma_f64 v[52:53], v[54:55], s[18:19], v[50:51]
	v_fma_f64 v[50:51], v[54:55], s[16:17], v[50:51]
	v_add_f64 v[72:73], v[72:73], v[76:77]
	v_add_f64 v[48:49], v[48:49], v[176:177]
	v_fma_f64 v[52:53], v[74:75], s[12:13], v[52:53]
	v_fma_f64 v[50:51], v[74:75], s[20:21], v[50:51]
	v_add_f64 v[48:49], v[48:49], v[178:179]
	v_fma_f64 v[52:53], v[72:73], s[0:1], v[52:53]
	v_fma_f64 v[72:73], v[72:73], s[0:1], v[50:51]
	v_add_f64 v[50:51], v[174:175], v[180:181]
	v_add_f64 v[48:49], v[48:49], v[180:181]
	v_fma_f64 v[50:51], v[50:51], -0.5, v[120:121]
	v_fma_f64 v[76:77], v[74:75], s[16:17], v[50:51]
	v_fma_f64 v[50:51], v[74:75], s[18:19], v[50:51]
	;; [unrolled: 1-line block ×4, first 2 shown]
	v_add_f64 v[54:55], v[164:165], v[166:167]
	v_fma_f64 v[76:77], v[78:79], s[0:1], v[76:77]
	v_fma_f64 v[80:81], v[78:79], s[0:1], v[50:51]
	v_fma_f64 v[74:75], v[54:55], -0.5, v[122:123]
	v_add_f64 v[78:79], v[162:163], -v[164:165]
	v_add_f64 v[50:51], v[122:123], v[162:163]
	v_fma_f64 v[54:55], v[82:83], s[16:17], v[74:75]
	v_fma_f64 v[74:75], v[82:83], s[18:19], v[74:75]
	v_add_f64 v[78:79], v[78:79], v[90:91]
	v_add_f64 v[50:51], v[50:51], v[164:165]
	v_fma_f64 v[54:55], v[88:89], s[20:21], v[54:55]
	v_fma_f64 v[74:75], v[88:89], s[12:13], v[74:75]
	v_add_f64 v[50:51], v[50:51], v[166:167]
	v_fma_f64 v[54:55], v[78:79], s[0:1], v[54:55]
	v_fma_f64 v[74:75], v[78:79], s[0:1], v[74:75]
	v_add_f64 v[78:79], v[162:163], v[168:169]
	v_add_f64 v[50:51], v[50:51], v[168:169]
	v_fma_f64 v[90:91], v[78:79], -0.5, v[122:123]
	v_fma_f64 v[78:79], v[88:89], s[18:19], v[90:91]
	v_fma_f64 v[88:89], v[88:89], s[16:17], v[90:91]
	;; [unrolled: 1-line block ×6, first 2 shown]
	ds_write_b128 v113, v[48:51] offset:4160
	ds_write_b128 v113, v[52:55] offset:4368
	;; [unrolled: 1-line block ×5, first 2 shown]
	s_waitcnt lgkmcnt(0)
	; wave barrier
	s_waitcnt lgkmcnt(0)
	ds_read_b128 v[20:23], v108
	ds_read_b128 v[48:51], v108 offset:1040
	ds_read_b128 v[52:55], v108 offset:2080
	;; [unrolled: 1-line block ×24, first 2 shown]
	global_load_dwordx4 v[124:127], v84, s[2:3] offset:880
	global_load_dwordx4 v[128:131], v84, s[2:3] offset:864
	;; [unrolled: 1-line block ×4, first 2 shown]
	s_waitcnt vmcnt(0) lgkmcnt(14)
	v_mul_f64 v[80:81], v[50:51], v[140:141]
	v_fma_f64 v[90:91], v[48:49], v[138:139], -v[80:81]
	v_mul_f64 v[48:49], v[48:49], v[140:141]
	v_fma_f64 v[254:255], v[50:51], v[138:139], v[48:49]
	v_mul_f64 v[48:49], v[54:55], v[134:135]
	v_fma_f64 v[250:251], v[52:53], v[132:133], -v[48:49]
	v_mul_f64 v[48:49], v[52:53], v[134:135]
	v_fma_f64 v[80:81], v[54:55], v[132:133], v[48:49]
	;; [unrolled: 4-line block ×4, first 2 shown]
	v_lshlrev_b32_e32 v48, 6, v186
	global_load_dwordx4 v[142:145], v48, s[2:3] offset:880
	global_load_dwordx4 v[146:149], v48, s[2:3] offset:864
	;; [unrolled: 1-line block ×4, first 2 shown]
	s_waitcnt vmcnt(0)
	v_mul_f64 v[48:49], v[154:155], v[74:75]
	v_fma_f64 v[76:77], v[152:153], v[72:73], -v[48:49]
	v_mul_f64 v[48:49], v[152:153], v[74:75]
	buffer_store_dword v72, off, s[52:55], 0 offset:436 ; 4-byte Folded Spill
	s_nop 0
	buffer_store_dword v73, off, s[52:55], 0 offset:440 ; 4-byte Folded Spill
	buffer_store_dword v74, off, s[52:55], 0 offset:444 ; 4-byte Folded Spill
	;; [unrolled: 1-line block ×3, first 2 shown]
	v_fma_f64 v[200:201], v[154:155], v[72:73], v[48:49]
	v_mul_f64 v[48:49], v[158:159], v[52:53]
	v_fma_f64 v[78:79], v[156:157], v[50:51], -v[48:49]
	v_mul_f64 v[48:49], v[156:157], v[52:53]
	buffer_store_dword v50, off, s[52:55], 0 offset:420 ; 4-byte Folded Spill
	s_nop 0
	buffer_store_dword v51, off, s[52:55], 0 offset:424 ; 4-byte Folded Spill
	buffer_store_dword v52, off, s[52:55], 0 offset:428 ; 4-byte Folded Spill
	;; [unrolled: 1-line block ×3, first 2 shown]
	v_fma_f64 v[204:205], v[158:159], v[50:51], v[48:49]
	v_mul_f64 v[48:49], v[162:163], v[148:149]
	v_fma_f64 v[84:85], v[160:161], v[146:147], -v[48:49]
	v_mul_f64 v[48:49], v[160:161], v[148:149]
	v_fma_f64 v[224:225], v[162:163], v[146:147], v[48:49]
	v_mul_f64 v[48:49], v[166:167], v[144:145]
	v_fma_f64 v[88:89], v[164:165], v[142:143], -v[48:49]
	v_mul_f64 v[48:49], v[164:165], v[144:145]
	v_fma_f64 v[236:237], v[166:167], v[142:143], v[48:49]
	v_lshlrev_b32_e32 v48, 6, v189
	global_load_dwordx4 v[150:153], v48, s[2:3] offset:880
	global_load_dwordx4 v[154:157], v48, s[2:3] offset:864
	;; [unrolled: 1-line block ×4, first 2 shown]
	s_waitcnt vmcnt(0) lgkmcnt(13)
	v_mul_f64 v[48:49], v[170:171], v[164:165]
	v_fma_f64 v[206:207], v[168:169], v[162:163], -v[48:49]
	v_mul_f64 v[48:49], v[168:169], v[164:165]
	v_fma_f64 v[202:203], v[170:171], v[162:163], v[48:49]
	s_waitcnt lgkmcnt(12)
	v_mul_f64 v[48:49], v[174:175], v[160:161]
	v_fma_f64 v[216:217], v[172:173], v[158:159], -v[48:49]
	v_mul_f64 v[48:49], v[172:173], v[160:161]
	v_fma_f64 v[208:209], v[174:175], v[158:159], v[48:49]
	s_waitcnt lgkmcnt(11)
	;; [unrolled: 5-line block ×3, first 2 shown]
	v_mul_f64 v[48:49], v[182:183], v[152:153]
	v_fma_f64 v[244:245], v[180:181], v[150:151], -v[48:49]
	v_mul_f64 v[48:49], v[180:181], v[152:153]
	v_fma_f64 v[212:213], v[182:183], v[150:151], v[48:49]
	v_lshlrev_b32_e32 v48, 6, v188
	global_load_dwordx4 v[166:169], v48, s[2:3] offset:880
	global_load_dwordx4 v[170:173], v48, s[2:3] offset:864
	;; [unrolled: 1-line block ×4, first 2 shown]
	s_waitcnt vmcnt(0) lgkmcnt(8)
	v_mul_f64 v[48:49], v[46:47], v[180:181]
	v_fma_f64 v[214:215], v[44:45], v[178:179], -v[48:49]
	v_mul_f64 v[44:45], v[44:45], v[180:181]
	v_fma_f64 v[222:223], v[46:47], v[178:179], v[44:45]
	s_waitcnt lgkmcnt(7)
	v_mul_f64 v[44:45], v[42:43], v[176:177]
	v_add_f64 v[46:47], v[224:225], -v[236:237]
	v_fma_f64 v[218:219], v[40:41], v[174:175], -v[44:45]
	v_mul_f64 v[40:41], v[40:41], v[176:177]
	v_add_f64 v[44:45], v[236:237], -v[224:225]
	v_fma_f64 v[226:227], v[42:43], v[174:175], v[40:41]
	s_waitcnt lgkmcnt(6)
	v_mul_f64 v[40:41], v[38:39], v[172:173]
	v_add_f64 v[42:43], v[78:79], -v[84:85]
	v_fma_f64 v[232:233], v[36:37], v[170:171], -v[40:41]
	v_mul_f64 v[36:37], v[36:37], v[172:173]
	v_add_f64 v[40:41], v[76:77], -v[88:89]
	;; [unrolled: 7-line block ×3, first 2 shown]
	v_fma_f64 v[230:231], v[34:35], v[166:167], v[32:33]
	v_lshlrev_b32_e32 v32, 6, v187
	global_load_dwordx4 v[182:185], v32, s[2:3] offset:880
	global_load_dwordx4 v[186:189], v32, s[2:3] offset:864
	;; [unrolled: 1-line block ×4, first 2 shown]
	v_add_f64 v[34:35], v[204:205], -v[224:225]
	buffer_store_dword v96, off, s[52:55], 0 offset:452 ; 4-byte Folded Spill
	s_waitcnt vmcnt(1) lgkmcnt(3)
	v_mul_f64 v[32:33], v[30:31], v[196:197]
	v_fma_f64 v[238:239], v[28:29], v[194:195], -v[32:33]
	v_mul_f64 v[28:29], v[28:29], v[196:197]
	v_add_f64 v[32:33], v[86:87], -v[82:83]
	v_fma_f64 v[246:247], v[30:31], v[194:195], v[28:29]
	s_waitcnt lgkmcnt(2)
	v_mul_f64 v[28:29], v[26:27], v[192:193]
	v_add_f64 v[30:31], v[254:255], -v[80:81]
	v_fma_f64 v[48:49], v[24:25], v[190:191], -v[28:29]
	v_mul_f64 v[24:25], v[24:25], v[192:193]
	v_add_f64 v[28:29], v[94:95], -v[92:93]
	v_add_f64 v[30:31], v[30:31], v[32:33]
	v_add_f64 v[32:33], v[82:83], -v[86:87]
	v_fma_f64 v[50:51], v[26:27], v[190:191], v[24:25]
	s_waitcnt lgkmcnt(1)
	v_mul_f64 v[24:25], v[18:19], v[188:189]
	v_add_f64 v[26:27], v[90:91], -v[250:251]
	v_fma_f64 v[72:73], v[16:17], v[186:187], -v[24:25]
	v_mul_f64 v[16:17], v[16:17], v[188:189]
	v_add_f64 v[24:25], v[80:81], -v[82:83]
	v_add_f64 v[26:27], v[26:27], v[28:29]
	v_add_f64 v[28:29], v[92:93], -v[94:95]
	v_fma_f64 v[52:53], v[18:19], v[186:187], v[16:17]
	s_waitcnt lgkmcnt(0)
	v_mul_f64 v[16:17], v[14:15], v[184:185]
	v_add_f64 v[18:19], v[254:255], -v[86:87]
	v_fma_f64 v[74:75], v[12:13], v[182:183], -v[16:17]
	v_mul_f64 v[12:13], v[12:13], v[184:185]
	v_fma_f64 v[54:55], v[14:15], v[182:183], v[12:13]
	v_add_f64 v[14:15], v[250:251], v[92:93]
	v_add_f64 v[12:13], v[20:21], v[90:91]
	v_fma_f64 v[14:15], v[14:15], -0.5, v[20:21]
	v_add_f64 v[12:13], v[12:13], v[250:251]
	v_fma_f64 v[16:17], v[18:19], s[18:19], v[14:15]
	v_fma_f64 v[14:15], v[18:19], s[16:17], v[14:15]
	v_add_f64 v[12:13], v[12:13], v[92:93]
	v_fma_f64 v[16:17], v[24:25], s[12:13], v[16:17]
	v_fma_f64 v[14:15], v[24:25], s[20:21], v[14:15]
	;; [unrolled: 3-line block ×3, first 2 shown]
	v_add_f64 v[14:15], v[90:91], v[94:95]
	v_add_f64 v[26:27], v[250:251], -v[90:91]
	v_fma_f64 v[14:15], v[14:15], -0.5, v[20:21]
	v_add_f64 v[26:27], v[26:27], v[28:29]
	v_add_f64 v[28:29], v[250:251], -v[92:93]
	v_fma_f64 v[20:21], v[24:25], s[16:17], v[14:15]
	v_fma_f64 v[14:15], v[24:25], s[18:19], v[14:15]
	v_add_f64 v[24:25], v[90:91], -v[94:95]
	v_fma_f64 v[20:21], v[18:19], s[12:13], v[20:21]
	v_fma_f64 v[14:15], v[18:19], s[20:21], v[14:15]
	v_add_f64 v[18:19], v[80:81], v[82:83]
	v_fma_f64 v[252:253], v[26:27], s[0:1], v[20:21]
	v_fma_f64 v[20:21], v[26:27], s[0:1], v[14:15]
	v_fma_f64 v[18:19], v[18:19], -0.5, v[22:23]
	v_add_f64 v[14:15], v[22:23], v[254:255]
	v_fma_f64 v[26:27], v[24:25], s[16:17], v[18:19]
	v_fma_f64 v[18:19], v[24:25], s[18:19], v[18:19]
	v_add_f64 v[14:15], v[14:15], v[80:81]
	v_fma_f64 v[26:27], v[28:29], s[20:21], v[26:27]
	v_fma_f64 v[18:19], v[28:29], s[12:13], v[18:19]
	v_add_f64 v[14:15], v[14:15], v[82:83]
	v_add_f64 v[82:83], v[202:203], -v[208:209]
	v_fma_f64 v[250:251], v[30:31], s[0:1], v[26:27]
	v_add_f64 v[26:27], v[254:255], v[86:87]
	v_fma_f64 v[18:19], v[30:31], s[0:1], v[18:19]
	v_add_f64 v[30:31], v[80:81], -v[254:255]
	v_add_f64 v[80:81], v[244:245], -v[220:221]
	v_add_f64 v[14:15], v[14:15], v[86:87]
	v_add_f64 v[86:87], v[234:235], -v[232:233]
	v_fma_f64 v[22:23], v[26:27], -0.5, v[22:23]
	v_add_f64 v[30:31], v[30:31], v[32:33]
	v_add_f64 v[32:33], v[76:77], -v[78:79]
	ds_write_b128 v108, v[12:15]
	v_fma_f64 v[26:27], v[28:29], s[18:19], v[22:23]
	v_fma_f64 v[22:23], v[28:29], s[16:17], v[22:23]
	v_add_f64 v[36:37], v[32:33], v[36:37]
	v_fma_f64 v[26:27], v[24:25], s[20:21], v[26:27]
	v_fma_f64 v[22:23], v[24:25], s[12:13], v[22:23]
	v_add_f64 v[24:25], v[8:9], v[76:77]
	v_fma_f64 v[254:255], v[30:31], s[0:1], v[26:27]
	v_add_f64 v[26:27], v[78:79], v[84:85]
	v_fma_f64 v[22:23], v[30:31], s[0:1], v[22:23]
	v_add_f64 v[30:31], v[200:201], -v[236:237]
	v_add_f64 v[24:25], v[24:25], v[78:79]
	v_fma_f64 v[26:27], v[26:27], -0.5, v[8:9]
	v_add_f64 v[24:25], v[24:25], v[84:85]
	v_add_f64 v[84:85], v[212:213], -v[210:211]
	v_fma_f64 v[28:29], v[30:31], s[18:19], v[26:27]
	v_fma_f64 v[26:27], v[30:31], s[16:17], v[26:27]
	v_add_f64 v[24:25], v[24:25], v[88:89]
	v_add_f64 v[82:83], v[82:83], v[84:85]
	v_add_f64 v[84:85], v[210:211], -v[212:213]
	v_fma_f64 v[28:29], v[34:35], s[12:13], v[28:29]
	v_fma_f64 v[26:27], v[34:35], s[20:21], v[26:27]
	;; [unrolled: 1-line block ×4, first 2 shown]
	v_add_f64 v[26:27], v[76:77], v[88:89]
	v_add_f64 v[36:37], v[78:79], -v[76:77]
	v_add_f64 v[76:77], v[208:209], -v[210:211]
	;; [unrolled: 1-line block ×3, first 2 shown]
	v_fma_f64 v[8:9], v[26:27], -0.5, v[8:9]
	v_add_f64 v[38:39], v[36:37], v[38:39]
	v_add_f64 v[78:79], v[78:79], v[80:81]
	v_add_f64 v[80:81], v[220:221], -v[244:245]
	v_fma_f64 v[26:27], v[34:35], s[16:17], v[8:9]
	v_fma_f64 v[8:9], v[34:35], s[18:19], v[8:9]
	;; [unrolled: 1-line block ×4, first 2 shown]
	v_add_f64 v[30:31], v[204:205], v[224:225]
	v_fma_f64 v[36:37], v[38:39], s[0:1], v[26:27]
	v_fma_f64 v[8:9], v[38:39], s[0:1], v[8:9]
	v_fma_f64 v[30:31], v[30:31], -0.5, v[10:11]
	v_add_f64 v[38:39], v[200:201], -v[204:205]
	v_add_f64 v[26:27], v[10:11], v[200:201]
	v_fma_f64 v[34:35], v[40:41], s[16:17], v[30:31]
	v_fma_f64 v[30:31], v[40:41], s[18:19], v[30:31]
	v_add_f64 v[38:39], v[38:39], v[44:45]
	v_add_f64 v[44:45], v[204:205], -v[200:201]
	v_add_f64 v[26:27], v[26:27], v[204:205]
	v_fma_f64 v[34:35], v[42:43], s[20:21], v[34:35]
	v_fma_f64 v[30:31], v[42:43], s[12:13], v[30:31]
	v_add_f64 v[44:45], v[44:45], v[46:47]
	;; [unrolled: 5-line block ×3, first 2 shown]
	v_add_f64 v[26:27], v[26:27], v[236:237]
	v_fma_f64 v[10:11], v[38:39], -0.5, v[10:11]
	v_fma_f64 v[38:39], v[42:43], s[18:19], v[10:11]
	v_fma_f64 v[10:11], v[42:43], s[16:17], v[10:11]
	v_add_f64 v[42:43], v[216:217], v[220:221]
	v_fma_f64 v[38:39], v[40:41], s[20:21], v[38:39]
	v_fma_f64 v[10:11], v[40:41], s[12:13], v[10:11]
	v_fma_f64 v[42:43], v[42:43], -0.5, v[4:5]
	v_add_f64 v[40:41], v[4:5], v[206:207]
	v_fma_f64 v[38:39], v[44:45], s[0:1], v[38:39]
	v_fma_f64 v[10:11], v[44:45], s[0:1], v[10:11]
	;; [unrolled: 1-line block ×4, first 2 shown]
	v_add_f64 v[40:41], v[40:41], v[216:217]
	v_fma_f64 v[44:45], v[76:77], s[12:13], v[44:45]
	v_fma_f64 v[42:43], v[76:77], s[20:21], v[42:43]
	v_add_f64 v[40:41], v[40:41], v[220:221]
	v_fma_f64 v[44:45], v[78:79], s[0:1], v[44:45]
	v_fma_f64 v[204:205], v[78:79], s[0:1], v[42:43]
	v_add_f64 v[42:43], v[206:207], v[244:245]
	v_add_f64 v[78:79], v[216:217], -v[206:207]
	v_add_f64 v[40:41], v[40:41], v[244:245]
	v_fma_f64 v[42:43], v[42:43], -0.5, v[4:5]
	v_add_f64 v[78:79], v[78:79], v[80:81]
	v_add_f64 v[80:81], v[216:217], -v[220:221]
	v_fma_f64 v[4:5], v[76:77], s[16:17], v[42:43]
	v_fma_f64 v[42:43], v[76:77], s[18:19], v[42:43]
	v_fma_f64 v[4:5], v[46:47], s[12:13], v[4:5]
	v_fma_f64 v[42:43], v[46:47], s[20:21], v[42:43]
	v_add_f64 v[46:47], v[208:209], v[210:211]
	v_fma_f64 v[4:5], v[78:79], s[0:1], v[4:5]
	v_fma_f64 v[200:201], v[78:79], s[0:1], v[42:43]
	v_fma_f64 v[76:77], v[46:47], -0.5, v[6:7]
	v_add_f64 v[78:79], v[206:207], -v[244:245]
	v_add_f64 v[42:43], v[6:7], v[202:203]
	v_fma_f64 v[46:47], v[78:79], s[16:17], v[76:77]
	v_fma_f64 v[76:77], v[78:79], s[18:19], v[76:77]
	v_add_f64 v[42:43], v[42:43], v[208:209]
	v_fma_f64 v[46:47], v[80:81], s[20:21], v[46:47]
	v_fma_f64 v[76:77], v[80:81], s[12:13], v[76:77]
	;; [unrolled: 3-line block ×3, first 2 shown]
	v_add_f64 v[76:77], v[202:203], v[212:213]
	v_add_f64 v[82:83], v[208:209], -v[202:203]
	v_add_f64 v[42:43], v[42:43], v[212:213]
	v_fma_f64 v[76:77], v[76:77], -0.5, v[6:7]
	v_add_f64 v[82:83], v[82:83], v[84:85]
	v_add_f64 v[84:85], v[214:215], -v[218:219]
	v_fma_f64 v[6:7], v[80:81], s[18:19], v[76:77]
	v_fma_f64 v[76:77], v[80:81], s[16:17], v[76:77]
	v_add_f64 v[84:85], v[84:85], v[86:87]
	v_fma_f64 v[6:7], v[78:79], s[20:21], v[6:7]
	v_fma_f64 v[76:77], v[78:79], s[12:13], v[76:77]
	v_add_f64 v[78:79], v[222:223], -v[230:231]
	v_fma_f64 v[6:7], v[82:83], s[0:1], v[6:7]
	v_fma_f64 v[202:203], v[82:83], s[0:1], v[76:77]
	v_add_f64 v[76:77], v[0:1], v[214:215]
	v_add_f64 v[82:83], v[226:227], -v[228:229]
	v_add_f64 v[76:77], v[76:77], v[218:219]
	v_add_f64 v[76:77], v[76:77], v[232:233]
	;; [unrolled: 1-line block ×4, first 2 shown]
	v_fma_f64 v[76:77], v[76:77], -0.5, v[0:1]
	v_fma_f64 v[80:81], v[78:79], s[18:19], v[76:77]
	v_fma_f64 v[76:77], v[78:79], s[16:17], v[76:77]
	v_fma_f64 v[80:81], v[82:83], s[12:13], v[80:81]
	v_fma_f64 v[76:77], v[82:83], s[20:21], v[76:77]
	v_fma_f64 v[212:213], v[84:85], s[0:1], v[80:81]
	v_fma_f64 v[216:217], v[84:85], s[0:1], v[76:77]
	v_add_f64 v[76:77], v[214:215], v[234:235]
	v_add_f64 v[80:81], v[218:219], -v[214:215]
	v_add_f64 v[84:85], v[232:233], -v[234:235]
	v_fma_f64 v[0:1], v[76:77], -0.5, v[0:1]
	v_add_f64 v[80:81], v[80:81], v[84:85]
	v_add_f64 v[84:85], v[230:231], -v[228:229]
	v_fma_f64 v[76:77], v[82:83], s[16:17], v[0:1]
	v_fma_f64 v[0:1], v[82:83], s[18:19], v[0:1]
	v_add_f64 v[82:83], v[222:223], -v[226:227]
	v_fma_f64 v[76:77], v[78:79], s[12:13], v[76:77]
	v_fma_f64 v[0:1], v[78:79], s[20:21], v[0:1]
	v_add_f64 v[82:83], v[82:83], v[84:85]
	v_fma_f64 v[220:221], v[80:81], s[0:1], v[76:77]
	v_fma_f64 v[224:225], v[80:81], s[0:1], v[0:1]
	v_add_f64 v[0:1], v[2:3], v[222:223]
	v_add_f64 v[76:77], v[214:215], -v[234:235]
	v_add_f64 v[80:81], v[218:219], -v[232:233]
	v_add_f64 v[0:1], v[0:1], v[226:227]
	v_add_f64 v[0:1], v[0:1], v[228:229]
	v_add_f64 v[210:211], v[0:1], v[230:231]
	v_add_f64 v[0:1], v[226:227], v[228:229]
	v_fma_f64 v[0:1], v[0:1], -0.5, v[2:3]
	v_fma_f64 v[78:79], v[76:77], s[16:17], v[0:1]
	v_fma_f64 v[0:1], v[76:77], s[18:19], v[0:1]
	;; [unrolled: 1-line block ×6, first 2 shown]
	v_add_f64 v[0:1], v[222:223], v[230:231]
	v_add_f64 v[78:79], v[226:227], -v[222:223]
	v_add_f64 v[82:83], v[228:229], -v[230:231]
	v_fma_f64 v[0:1], v[0:1], -0.5, v[2:3]
	v_add_f64 v[78:79], v[78:79], v[82:83]
	v_add_f64 v[82:83], v[74:75], -v[72:73]
	v_fma_f64 v[2:3], v[80:81], s[18:19], v[0:1]
	v_fma_f64 v[0:1], v[80:81], s[16:17], v[0:1]
	v_add_f64 v[80:81], v[238:239], -v[48:49]
	v_fma_f64 v[2:3], v[76:77], s[20:21], v[2:3]
	v_fma_f64 v[0:1], v[76:77], s[12:13], v[0:1]
	v_add_f64 v[80:81], v[80:81], v[82:83]
	v_add_f64 v[82:83], v[72:73], -v[74:75]
	v_fma_f64 v[222:223], v[78:79], s[0:1], v[2:3]
	v_fma_f64 v[226:227], v[78:79], s[0:1], v[0:1]
	v_add_f64 v[0:1], v[240:241], v[238:239]
	v_add_f64 v[2:3], v[246:247], -v[54:55]
	v_add_f64 v[78:79], v[50:51], -v[52:53]
	v_add_f64 v[0:1], v[0:1], v[48:49]
	v_add_f64 v[0:1], v[0:1], v[72:73]
	;; [unrolled: 1-line block ×4, first 2 shown]
	v_fma_f64 v[0:1], v[0:1], -0.5, v[240:241]
	v_fma_f64 v[76:77], v[2:3], s[18:19], v[0:1]
	v_fma_f64 v[0:1], v[2:3], s[16:17], v[0:1]
	v_fma_f64 v[76:77], v[78:79], s[12:13], v[76:77]
	v_fma_f64 v[0:1], v[78:79], s[20:21], v[0:1]
	v_fma_f64 v[232:233], v[80:81], s[0:1], v[76:77]
	v_fma_f64 v[236:237], v[80:81], s[0:1], v[0:1]
	v_add_f64 v[0:1], v[238:239], v[74:75]
	v_add_f64 v[80:81], v[48:49], -v[238:239]
	v_add_f64 v[48:49], v[48:49], -v[72:73]
	v_fma_f64 v[0:1], v[0:1], -0.5, v[240:241]
	v_add_f64 v[80:81], v[80:81], v[82:83]
	v_fma_f64 v[76:77], v[78:79], s[16:17], v[0:1]
	v_fma_f64 v[0:1], v[78:79], s[18:19], v[0:1]
	;; [unrolled: 1-line block ×4, first 2 shown]
	v_add_f64 v[2:3], v[238:239], -v[74:75]
	v_fma_f64 v[240:241], v[80:81], s[0:1], v[76:77]
	v_fma_f64 v[244:245], v[80:81], s[0:1], v[0:1]
	v_add_f64 v[0:1], v[242:243], v[246:247]
	v_add_f64 v[76:77], v[54:55], -v[52:53]
	v_lshl_add_u32 v80, v105, 4, v96
	v_add_f64 v[0:1], v[0:1], v[50:51]
	v_add_f64 v[0:1], v[0:1], v[52:53]
	;; [unrolled: 1-line block ×4, first 2 shown]
	v_add_f64 v[52:53], v[52:53], -v[54:55]
	v_fma_f64 v[0:1], v[0:1], -0.5, v[242:243]
	v_fma_f64 v[74:75], v[2:3], s[16:17], v[0:1]
	v_fma_f64 v[0:1], v[2:3], s[18:19], v[0:1]
	;; [unrolled: 1-line block ×3, first 2 shown]
	v_add_f64 v[74:75], v[246:247], -v[50:51]
	v_fma_f64 v[0:1], v[48:49], s[12:13], v[0:1]
	v_add_f64 v[50:51], v[50:51], -v[246:247]
	v_add_f64 v[74:75], v[74:75], v[76:77]
	v_add_f64 v[50:51], v[50:51], v[52:53]
	v_fma_f64 v[238:239], v[74:75], s[0:1], v[0:1]
	v_add_f64 v[0:1], v[246:247], v[54:55]
	v_fma_f64 v[234:235], v[74:75], s[0:1], v[72:73]
	v_fma_f64 v[0:1], v[0:1], -0.5, v[242:243]
	v_fma_f64 v[72:73], v[48:49], s[18:19], v[0:1]
	v_fma_f64 v[0:1], v[48:49], s[16:17], v[0:1]
	;; [unrolled: 1-line block ×6, first 2 shown]
	ds_write_b128 v80, v[248:251] offset:1040
	ds_write_b128 v80, v[252:255] offset:2080
	;; [unrolled: 1-line block ×24, first 2 shown]
	s_waitcnt lgkmcnt(0)
	; wave barrier
	s_waitcnt lgkmcnt(0)
	global_load_dwordx4 v[6:9], v109, s[4:5]
	ds_read_b128 v[2:5], v108
	v_add_co_u32_e64 v0, s[0:1], s4, v109
	v_mov_b32_e32 v1, s5
	v_addc_co_u32_e64 v1, s[0:1], 0, v1, s[0:1]
	s_movk_i32 s0, 0x1000
	s_waitcnt vmcnt(0) lgkmcnt(0)
	v_mul_f64 v[10:11], v[4:5], v[8:9]
	v_fma_f64 v[10:11], v[2:3], v[6:7], -v[10:11]
	v_mul_f64 v[2:3], v[2:3], v[8:9]
	v_fma_f64 v[12:13], v[4:5], v[6:7], v[2:3]
	global_load_dwordx4 v[6:9], v109, s[4:5] offset:400
	ds_read_b128 v[2:5], v108 offset:400
	ds_write_b128 v108, v[10:13]
	s_waitcnt vmcnt(0) lgkmcnt(1)
	v_mul_f64 v[10:11], v[4:5], v[8:9]
	v_fma_f64 v[10:11], v[2:3], v[6:7], -v[10:11]
	v_mul_f64 v[2:3], v[2:3], v[8:9]
	v_fma_f64 v[12:13], v[4:5], v[6:7], v[2:3]
	global_load_dwordx4 v[6:9], v109, s[4:5] offset:800
	ds_read_b128 v[2:5], v108 offset:800
	ds_write_b128 v108, v[10:13] offset:400
	s_waitcnt vmcnt(0) lgkmcnt(1)
	v_mul_f64 v[10:11], v[4:5], v[8:9]
	v_fma_f64 v[10:11], v[2:3], v[6:7], -v[10:11]
	v_mul_f64 v[2:3], v[2:3], v[8:9]
	v_fma_f64 v[12:13], v[4:5], v[6:7], v[2:3]
	global_load_dwordx4 v[6:9], v109, s[4:5] offset:1200
	ds_read_b128 v[2:5], v108 offset:1200
	ds_write_b128 v108, v[10:13] offset:800
	;; [unrolled: 8-line block ×9, first 2 shown]
	s_waitcnt vmcnt(0) lgkmcnt(1)
	v_mul_f64 v[10:11], v[4:5], v[8:9]
	v_fma_f64 v[10:11], v[2:3], v[6:7], -v[10:11]
	v_mul_f64 v[2:3], v[2:3], v[8:9]
	v_fma_f64 v[12:13], v[4:5], v[6:7], v[2:3]
	v_add_co_u32_e64 v2, s[0:1], s0, v0
	v_addc_co_u32_e64 v3, s[0:1], 0, v1, s[0:1]
	ds_read_b128 v[4:7], v108 offset:4400
	ds_write_b128 v108, v[10:13] offset:4000
	global_load_dwordx4 v[8:11], v[2:3], off offset:304
	s_waitcnt vmcnt(0) lgkmcnt(1)
	v_mul_f64 v[12:13], v[6:7], v[10:11]
	v_fma_f64 v[12:13], v[4:5], v[8:9], -v[12:13]
	v_mul_f64 v[4:5], v[4:5], v[10:11]
	v_fma_f64 v[14:15], v[6:7], v[8:9], v[4:5]
	global_load_dwordx4 v[8:11], v[2:3], off offset:704
	ds_read_b128 v[4:7], v108 offset:4800
	ds_write_b128 v108, v[12:15] offset:4400
	s_waitcnt vmcnt(0) lgkmcnt(1)
	v_mul_f64 v[12:13], v[6:7], v[10:11]
	v_fma_f64 v[12:13], v[4:5], v[8:9], -v[12:13]
	v_mul_f64 v[4:5], v[4:5], v[10:11]
	v_fma_f64 v[14:15], v[6:7], v[8:9], v[4:5]
	ds_write_b128 v108, v[12:15] offset:4800
	s_and_saveexec_b64 s[0:1], vcc
	s_cbranch_execz .LBB0_9
; %bb.8:
	global_load_dwordx4 v[8:11], v[0:1], off offset:208
	ds_read_b128 v[4:7], v80 offset:208
	s_waitcnt vmcnt(0) lgkmcnt(0)
	v_mul_f64 v[12:13], v[6:7], v[10:11]
	v_fma_f64 v[12:13], v[4:5], v[8:9], -v[12:13]
	v_mul_f64 v[4:5], v[4:5], v[10:11]
	v_fma_f64 v[14:15], v[6:7], v[8:9], v[4:5]
	global_load_dwordx4 v[8:11], v[0:1], off offset:608
	ds_write_b128 v80, v[12:15] offset:208
	ds_read_b128 v[4:7], v108 offset:608
	s_waitcnt vmcnt(0) lgkmcnt(0)
	v_mul_f64 v[12:13], v[6:7], v[10:11]
	v_fma_f64 v[12:13], v[4:5], v[8:9], -v[12:13]
	v_mul_f64 v[4:5], v[4:5], v[10:11]
	v_fma_f64 v[14:15], v[6:7], v[8:9], v[4:5]
	global_load_dwordx4 v[8:11], v[0:1], off offset:1008
	ds_read_b128 v[4:7], v108 offset:1008
	ds_write_b128 v108, v[12:15] offset:608
	s_waitcnt vmcnt(0) lgkmcnt(1)
	v_mul_f64 v[12:13], v[6:7], v[10:11]
	v_fma_f64 v[12:13], v[4:5], v[8:9], -v[12:13]
	v_mul_f64 v[4:5], v[4:5], v[10:11]
	v_fma_f64 v[14:15], v[6:7], v[8:9], v[4:5]
	global_load_dwordx4 v[8:11], v[0:1], off offset:1408
	ds_read_b128 v[4:7], v108 offset:1408
	ds_write_b128 v108, v[12:15] offset:1008
	;; [unrolled: 8-line block ×9, first 2 shown]
	s_waitcnt vmcnt(0) lgkmcnt(1)
	v_mul_f64 v[0:1], v[6:7], v[10:11]
	v_fma_f64 v[12:13], v[4:5], v[8:9], -v[0:1]
	v_mul_f64 v[0:1], v[4:5], v[10:11]
	v_fma_f64 v[14:15], v[6:7], v[8:9], v[0:1]
	v_mov_b32_e32 v0, 0x1200
	v_lshl_or_b32 v0, v105, 4, v0
	global_load_dwordx4 v[8:11], v0, s[4:5]
	ds_read_b128 v[4:7], v108 offset:4608
	ds_write_b128 v108, v[12:15] offset:4208
	s_waitcnt vmcnt(0) lgkmcnt(1)
	v_mul_f64 v[0:1], v[6:7], v[10:11]
	v_fma_f64 v[12:13], v[4:5], v[8:9], -v[0:1]
	v_mul_f64 v[0:1], v[4:5], v[10:11]
	v_fma_f64 v[14:15], v[6:7], v[8:9], v[0:1]
	global_load_dwordx4 v[0:3], v[2:3], off offset:912
	ds_read_b128 v[4:7], v108 offset:5008
	ds_write_b128 v108, v[12:15] offset:4608
	s_waitcnt vmcnt(0) lgkmcnt(1)
	v_mul_f64 v[8:9], v[6:7], v[2:3]
	v_mul_f64 v[2:3], v[4:5], v[2:3]
	v_fma_f64 v[8:9], v[4:5], v[0:1], -v[8:9]
	v_fma_f64 v[10:11], v[6:7], v[0:1], v[2:3]
	ds_write_b128 v108, v[8:11] offset:5008
.LBB0_9:
	s_or_b64 exec, exec, s[0:1]
	s_waitcnt lgkmcnt(0)
	; wave barrier
	s_waitcnt lgkmcnt(0)
	ds_read_b128 v[36:39], v108
	ds_read_b128 v[40:43], v108 offset:400
	ds_read_b128 v[28:31], v108 offset:800
	;; [unrolled: 1-line block ×12, first 2 shown]
	s_and_saveexec_b64 s[0:1], vcc
	s_cbranch_execz .LBB0_11
; %bb.10:
	ds_read_b128 v[200:203], v80 offset:208
	ds_read_b128 v[204:207], v80 offset:608
	;; [unrolled: 1-line block ×13, first 2 shown]
	s_waitcnt lgkmcnt(0)
	buffer_store_dword v0, off, s[52:55], 0 offset:4 ; 4-byte Folded Spill
	s_nop 0
	buffer_store_dword v1, off, s[52:55], 0 offset:8 ; 4-byte Folded Spill
	buffer_store_dword v2, off, s[52:55], 0 offset:12 ; 4-byte Folded Spill
	;; [unrolled: 1-line block ×3, first 2 shown]
.LBB0_11:
	s_or_b64 exec, exec, s[0:1]
	s_waitcnt lgkmcnt(11)
	v_add_f64 v[0:1], v[36:37], v[40:41]
	v_add_f64 v[2:3], v[38:39], v[42:43]
	s_waitcnt lgkmcnt(0)
	v_add_f64 v[50:51], v[42:43], v[46:47]
	v_add_f64 v[42:43], v[42:43], -v[46:47]
	s_mov_b32 s2, 0x4267c47c
	s_mov_b32 s12, 0x42a4c3d2
	;; [unrolled: 1-line block ×4, first 2 shown]
	v_add_f64 v[0:1], v[0:1], v[28:29]
	v_add_f64 v[2:3], v[2:3], v[30:31]
	s_mov_b32 s24, 0xd0032e0c
	s_mov_b32 s36, 0x4bc48dbf
	;; [unrolled: 1-line block ×6, first 2 shown]
	v_add_f64 v[0:1], v[0:1], v[20:21]
	v_add_f64 v[2:3], v[2:3], v[22:23]
	s_mov_b32 s25, 0xbfe7f3cc
	s_mov_b32 s37, 0xbfcea1e5
	v_add_f64 v[48:49], v[40:41], v[44:45]
	v_add_f64 v[40:41], v[40:41], -v[44:45]
	v_mul_f64 v[72:73], v[42:43], s[12:13]
	v_mul_f64 v[82:83], v[42:43], s[18:19]
	v_add_f64 v[0:1], v[0:1], v[12:13]
	v_add_f64 v[2:3], v[2:3], v[14:15]
	v_mul_f64 v[90:91], v[42:43], s[22:23]
	v_mul_f64 v[102:103], v[42:43], s[28:29]
	v_mul_f64 v[106:107], v[50:51], s[24:25]
	s_mov_b32 s0, 0xe00740e9
	s_mov_b32 s4, 0x1ea71119
	;; [unrolled: 1-line block ×3, first 2 shown]
	v_add_f64 v[0:1], v[0:1], v[4:5]
	v_add_f64 v[2:3], v[2:3], v[6:7]
	s_mov_b32 s20, 0xb2365da1
	s_mov_b32 s34, 0x93053d00
	;; [unrolled: 1-line block ×6, first 2 shown]
	v_add_f64 v[0:1], v[0:1], v[248:249]
	v_add_f64 v[2:3], v[2:3], v[250:251]
	s_mov_b32 s43, 0x3fe5384d
	s_mov_b32 s42, s28
	;; [unrolled: 1-line block ×3, first 2 shown]
	v_mul_f64 v[52:53], v[50:51], s[0:1]
	v_fma_f64 v[74:75], v[48:49], s[4:5], v[72:73]
	v_mul_f64 v[76:77], v[50:51], s[4:5]
	v_add_f64 v[0:1], v[0:1], v[252:253]
	v_add_f64 v[2:3], v[2:3], v[254:255]
	v_fma_f64 v[72:73], v[48:49], s[4:5], -v[72:73]
	v_fma_f64 v[84:85], v[48:49], s[16:17], v[82:83]
	v_mul_f64 v[86:87], v[50:51], s[16:17]
	v_fma_f64 v[82:83], v[48:49], s[16:17], -v[82:83]
	v_fma_f64 v[92:93], v[48:49], s[20:21], v[90:91]
	v_mul_f64 v[94:95], v[50:51], s[20:21]
	v_add_f64 v[0:1], v[0:1], v[8:9]
	v_add_f64 v[2:3], v[2:3], v[10:11]
	v_fma_f64 v[90:91], v[48:49], s[20:21], -v[90:91]
	v_fma_f64 v[104:105], v[48:49], s[24:25], v[102:103]
	v_fma_f64 v[96:97], v[40:41], s[42:43], v[106:107]
	v_fma_f64 v[98:99], v[48:49], s[24:25], -v[102:103]
	v_fma_f64 v[102:103], v[40:41], s[28:29], v[106:107]
	v_mul_f64 v[50:51], v[50:51], s[34:35]
	v_add_f64 v[0:1], v[0:1], v[16:17]
	v_add_f64 v[2:3], v[2:3], v[18:19]
	s_mov_b32 s27, 0x3fddbe06
	s_mov_b32 s26, s2
	;; [unrolled: 1-line block ×6, first 2 shown]
	v_add_f64 v[0:1], v[0:1], v[24:25]
	v_add_f64 v[2:3], v[2:3], v[26:27]
	s_mov_b32 s41, 0x3fedeba7
	s_mov_b32 s40, s22
	;; [unrolled: 1-line block ×3, first 2 shown]
	v_fma_f64 v[54:55], v[40:41], s[26:27], v[52:53]
	v_fma_f64 v[52:53], v[40:41], s[2:3], v[52:53]
	v_add_f64 v[74:75], v[36:37], v[74:75]
	v_add_f64 v[0:1], v[0:1], v[32:33]
	v_add_f64 v[2:3], v[2:3], v[34:35]
	v_fma_f64 v[78:79], v[40:41], s[38:39], v[76:77]
	v_add_f64 v[72:73], v[36:37], v[72:73]
	v_fma_f64 v[76:77], v[40:41], s[12:13], v[76:77]
	v_add_f64 v[84:85], v[36:37], v[84:85]
	v_fma_f64 v[88:89], v[40:41], s[30:31], v[86:87]
	v_add_f64 v[82:83], v[36:37], v[82:83]
	v_add_f64 v[0:1], v[0:1], v[44:45]
	v_mul_f64 v[44:45], v[42:43], s[2:3]
	v_mul_f64 v[42:43], v[42:43], s[36:37]
	v_add_f64 v[2:3], v[2:3], v[46:47]
	v_fma_f64 v[86:87], v[40:41], s[18:19], v[86:87]
	v_add_f64 v[92:93], v[36:37], v[92:93]
	v_fma_f64 v[100:101], v[40:41], s[40:41], v[94:95]
	;; [unrolled: 2-line block ×3, first 2 shown]
	v_fma_f64 v[46:47], v[48:49], s[0:1], v[44:45]
	v_fma_f64 v[44:45], v[48:49], s[0:1], -v[44:45]
	v_fma_f64 v[106:107], v[48:49], s[34:35], v[42:43]
	v_fma_f64 v[42:43], v[48:49], s[34:35], -v[42:43]
	v_add_f64 v[104:105], v[36:37], v[104:105]
	v_add_f64 v[98:99], v[36:37], v[98:99]
	v_fma_f64 v[111:112], v[40:41], s[44:45], v[50:51]
	v_fma_f64 v[40:41], v[40:41], s[36:37], v[50:51]
	v_add_f64 v[46:47], v[36:37], v[46:47]
	v_add_f64 v[44:45], v[36:37], v[44:45]
	v_add_f64 v[106:107], v[36:37], v[106:107]
	v_add_f64 v[36:37], v[36:37], v[42:43]
	v_add_f64 v[42:43], v[30:31], v[34:35]
	v_add_f64 v[30:31], v[30:31], -v[34:35]
	v_add_f64 v[54:55], v[38:39], v[54:55]
	v_add_f64 v[52:53], v[38:39], v[52:53]
	;; [unrolled: 1-line block ×13, first 2 shown]
	v_add_f64 v[28:29], v[28:29], -v[32:33]
	v_mul_f64 v[32:33], v[30:31], s[12:13]
	v_add_u32_e32 v198, 0x340, v108
	s_waitcnt lgkmcnt(0)
	; wave barrier
	v_fma_f64 v[34:35], v[40:41], s[4:5], v[32:33]
	v_fma_f64 v[32:33], v[40:41], s[4:5], -v[32:33]
	v_add_f64 v[34:35], v[34:35], v[46:47]
	v_mul_f64 v[46:47], v[42:43], s[4:5]
	v_add_f64 v[32:33], v[32:33], v[44:45]
	v_fma_f64 v[44:45], v[28:29], s[12:13], v[46:47]
	v_fma_f64 v[48:49], v[28:29], s[38:39], v[46:47]
	v_mul_f64 v[46:47], v[30:31], s[22:23]
	v_add_f64 v[44:45], v[44:45], v[52:53]
	v_mul_f64 v[52:53], v[42:43], s[20:21]
	v_add_f64 v[48:49], v[48:49], v[54:55]
	v_fma_f64 v[50:51], v[40:41], s[20:21], v[46:47]
	v_fma_f64 v[46:47], v[40:41], s[20:21], -v[46:47]
	v_fma_f64 v[54:55], v[28:29], s[40:41], v[52:53]
	v_fma_f64 v[52:53], v[28:29], s[22:23], v[52:53]
	v_add_f64 v[50:51], v[50:51], v[74:75]
	v_add_f64 v[46:47], v[46:47], v[72:73]
	v_mul_f64 v[72:73], v[30:31], s[36:37]
	v_add_f64 v[54:55], v[54:55], v[78:79]
	v_add_f64 v[52:53], v[52:53], v[76:77]
	v_mul_f64 v[76:77], v[42:43], s[34:35]
	v_fma_f64 v[74:75], v[40:41], s[34:35], v[72:73]
	v_fma_f64 v[72:73], v[40:41], s[34:35], -v[72:73]
	v_fma_f64 v[78:79], v[28:29], s[44:45], v[76:77]
	v_fma_f64 v[76:77], v[28:29], s[36:37], v[76:77]
	v_add_f64 v[74:75], v[74:75], v[84:85]
	v_add_f64 v[72:73], v[72:73], v[82:83]
	v_mul_f64 v[82:83], v[30:31], s[42:43]
	v_add_f64 v[78:79], v[78:79], v[88:89]
	v_add_f64 v[76:77], v[76:77], v[86:87]
	v_mul_f64 v[86:87], v[42:43], s[24:25]
	v_fma_f64 v[84:85], v[40:41], s[24:25], v[82:83]
	v_fma_f64 v[82:83], v[40:41], s[24:25], -v[82:83]
	v_fma_f64 v[88:89], v[28:29], s[28:29], v[86:87]
	v_fma_f64 v[86:87], v[28:29], s[42:43], v[86:87]
	v_add_f64 v[84:85], v[84:85], v[92:93]
	v_add_f64 v[82:83], v[82:83], v[90:91]
	v_mul_f64 v[90:91], v[30:31], s[30:31]
	v_mul_f64 v[30:31], v[30:31], s[26:27]
	v_add_f64 v[88:89], v[88:89], v[100:101]
	v_add_f64 v[86:87], v[86:87], v[94:95]
	v_mul_f64 v[94:95], v[42:43], s[16:17]
	v_mul_f64 v[42:43], v[42:43], s[0:1]
	v_fma_f64 v[92:93], v[40:41], s[16:17], v[90:91]
	v_fma_f64 v[90:91], v[40:41], s[16:17], -v[90:91]
	v_fma_f64 v[100:101], v[28:29], s[18:19], v[94:95]
	v_fma_f64 v[94:95], v[28:29], s[30:31], v[94:95]
	v_add_f64 v[92:93], v[92:93], v[104:105]
	v_add_f64 v[90:91], v[90:91], v[98:99]
	v_fma_f64 v[98:99], v[40:41], s[0:1], v[30:31]
	v_fma_f64 v[30:31], v[40:41], s[0:1], -v[30:31]
	v_add_f64 v[96:97], v[100:101], v[96:97]
	v_fma_f64 v[100:101], v[28:29], s[2:3], v[42:43]
	v_fma_f64 v[28:29], v[28:29], s[26:27], v[42:43]
	v_add_f64 v[94:95], v[94:95], v[102:103]
	v_add_f64 v[98:99], v[98:99], v[106:107]
	;; [unrolled: 1-line block ×4, first 2 shown]
	v_add_f64 v[20:21], v[20:21], -v[24:25]
	v_add_f64 v[100:101], v[100:101], v[111:112]
	v_add_f64 v[28:29], v[28:29], v[38:39]
	;; [unrolled: 1-line block ×3, first 2 shown]
	v_add_f64 v[22:23], v[22:23], -v[26:27]
	v_mul_f64 v[24:25], v[22:23], s[18:19]
	v_fma_f64 v[26:27], v[36:37], s[16:17], v[24:25]
	v_fma_f64 v[24:25], v[36:37], s[16:17], -v[24:25]
	v_add_f64 v[26:27], v[26:27], v[34:35]
	v_mul_f64 v[34:35], v[38:39], s[16:17]
	v_add_f64 v[24:25], v[24:25], v[32:33]
	v_fma_f64 v[40:41], v[20:21], s[30:31], v[34:35]
	v_fma_f64 v[32:33], v[20:21], s[18:19], v[34:35]
	v_mul_f64 v[34:35], v[22:23], s[36:37]
	v_add_f64 v[40:41], v[40:41], v[48:49]
	v_add_f64 v[32:33], v[32:33], v[44:45]
	v_fma_f64 v[42:43], v[36:37], s[34:35], v[34:35]
	v_fma_f64 v[34:35], v[36:37], s[34:35], -v[34:35]
	v_mul_f64 v[44:45], v[38:39], s[34:35]
	v_add_f64 v[42:43], v[42:43], v[50:51]
	v_add_f64 v[34:35], v[34:35], v[46:47]
	v_mul_f64 v[46:47], v[22:23], s[40:41]
	v_fma_f64 v[48:49], v[20:21], s[44:45], v[44:45]
	v_fma_f64 v[44:45], v[20:21], s[36:37], v[44:45]
	;; [unrolled: 1-line block ×3, first 2 shown]
	v_fma_f64 v[46:47], v[36:37], s[20:21], -v[46:47]
	v_add_f64 v[44:45], v[44:45], v[52:53]
	v_mul_f64 v[52:53], v[38:39], s[20:21]
	v_add_f64 v[48:49], v[48:49], v[54:55]
	v_add_f64 v[50:51], v[50:51], v[74:75]
	;; [unrolled: 1-line block ×3, first 2 shown]
	v_mul_f64 v[72:73], v[22:23], s[26:27]
	v_fma_f64 v[54:55], v[20:21], s[22:23], v[52:53]
	v_fma_f64 v[52:53], v[20:21], s[40:41], v[52:53]
	;; [unrolled: 1-line block ×3, first 2 shown]
	v_fma_f64 v[72:73], v[36:37], s[0:1], -v[72:73]
	v_add_f64 v[52:53], v[52:53], v[76:77]
	v_mul_f64 v[76:77], v[38:39], s[0:1]
	v_add_f64 v[54:55], v[54:55], v[78:79]
	v_add_f64 v[74:75], v[74:75], v[84:85]
	;; [unrolled: 1-line block ×3, first 2 shown]
	v_mul_f64 v[82:83], v[22:23], s[12:13]
	v_fma_f64 v[78:79], v[20:21], s[2:3], v[76:77]
	v_fma_f64 v[76:77], v[20:21], s[26:27], v[76:77]
	v_mul_f64 v[22:23], v[22:23], s[28:29]
	v_fma_f64 v[84:85], v[36:37], s[4:5], v[82:83]
	v_fma_f64 v[82:83], v[36:37], s[4:5], -v[82:83]
	v_add_f64 v[76:77], v[76:77], v[86:87]
	v_mul_f64 v[86:87], v[38:39], s[4:5]
	v_mul_f64 v[38:39], v[38:39], s[24:25]
	v_add_f64 v[78:79], v[78:79], v[88:89]
	v_add_f64 v[84:85], v[84:85], v[92:93]
	;; [unrolled: 1-line block ×3, first 2 shown]
	v_fma_f64 v[90:91], v[36:37], s[24:25], v[22:23]
	v_fma_f64 v[22:23], v[36:37], s[24:25], -v[22:23]
	v_fma_f64 v[88:89], v[20:21], s[38:39], v[86:87]
	v_fma_f64 v[86:87], v[20:21], s[12:13], v[86:87]
	;; [unrolled: 1-line block ×4, first 2 shown]
	v_add_f64 v[90:91], v[90:91], v[98:99]
	v_add_f64 v[22:23], v[22:23], v[30:31]
	;; [unrolled: 1-line block ×3, first 2 shown]
	v_add_f64 v[14:15], v[14:15], -v[18:19]
	v_add_f64 v[88:89], v[88:89], v[96:97]
	v_add_f64 v[20:21], v[20:21], v[28:29]
	;; [unrolled: 1-line block ×3, first 2 shown]
	v_add_f64 v[12:13], v[12:13], -v[16:17]
	v_add_f64 v[92:93], v[92:93], v[100:101]
	v_add_f64 v[86:87], v[86:87], v[94:95]
	v_mul_f64 v[38:39], v[30:31], s[24:25]
	v_mul_f64 v[16:17], v[14:15], s[22:23]
	v_fma_f64 v[18:19], v[28:29], s[20:21], v[16:17]
	v_fma_f64 v[16:17], v[28:29], s[20:21], -v[16:17]
	v_add_f64 v[18:19], v[18:19], v[26:27]
	v_mul_f64 v[26:27], v[30:31], s[20:21]
	v_add_f64 v[16:17], v[16:17], v[24:25]
	v_fma_f64 v[36:37], v[12:13], s[40:41], v[26:27]
	v_fma_f64 v[24:25], v[12:13], s[22:23], v[26:27]
	v_mul_f64 v[26:27], v[14:15], s[42:43]
	v_add_f64 v[36:37], v[36:37], v[40:41]
	v_add_f64 v[24:25], v[24:25], v[32:33]
	v_fma_f64 v[32:33], v[28:29], s[24:25], v[26:27]
	v_fma_f64 v[26:27], v[28:29], s[24:25], -v[26:27]
	v_fma_f64 v[40:41], v[12:13], s[28:29], v[38:39]
	v_add_f64 v[32:33], v[32:33], v[42:43]
	v_add_f64 v[26:27], v[26:27], v[34:35]
	v_fma_f64 v[34:35], v[12:13], s[42:43], v[38:39]
	v_mul_f64 v[38:39], v[14:15], s[26:27]
	v_add_f64 v[40:41], v[40:41], v[48:49]
	v_add_f64 v[34:35], v[34:35], v[44:45]
	v_fma_f64 v[42:43], v[28:29], s[0:1], v[38:39]
	v_fma_f64 v[38:39], v[28:29], s[0:1], -v[38:39]
	v_mul_f64 v[44:45], v[30:31], s[0:1]
	v_add_f64 v[42:43], v[42:43], v[50:51]
	v_add_f64 v[38:39], v[38:39], v[46:47]
	v_mul_f64 v[46:47], v[14:15], s[18:19]
	v_fma_f64 v[48:49], v[12:13], s[2:3], v[44:45]
	v_fma_f64 v[44:45], v[12:13], s[26:27], v[44:45]
	;; [unrolled: 1-line block ×3, first 2 shown]
	v_fma_f64 v[46:47], v[28:29], s[16:17], -v[46:47]
	v_add_f64 v[44:45], v[44:45], v[52:53]
	v_mul_f64 v[52:53], v[30:31], s[16:17]
	v_add_f64 v[48:49], v[48:49], v[54:55]
	v_add_f64 v[50:51], v[50:51], v[74:75]
	;; [unrolled: 1-line block ×3, first 2 shown]
	v_mul_f64 v[72:73], v[14:15], s[44:45]
	v_fma_f64 v[54:55], v[12:13], s[30:31], v[52:53]
	v_fma_f64 v[52:53], v[12:13], s[18:19], v[52:53]
	v_mul_f64 v[14:15], v[14:15], s[38:39]
	v_fma_f64 v[74:75], v[28:29], s[34:35], v[72:73]
	v_fma_f64 v[72:73], v[28:29], s[34:35], -v[72:73]
	v_add_f64 v[52:53], v[52:53], v[76:77]
	v_mul_f64 v[76:77], v[30:31], s[34:35]
	v_mul_f64 v[30:31], v[30:31], s[4:5]
	v_add_f64 v[54:55], v[54:55], v[78:79]
	v_add_f64 v[74:75], v[74:75], v[84:85]
	;; [unrolled: 1-line block ×3, first 2 shown]
	v_fma_f64 v[82:83], v[28:29], s[4:5], v[14:15]
	v_fma_f64 v[14:15], v[28:29], s[4:5], -v[14:15]
	v_fma_f64 v[78:79], v[12:13], s[36:37], v[76:77]
	v_fma_f64 v[76:77], v[12:13], s[44:45], v[76:77]
	;; [unrolled: 1-line block ×4, first 2 shown]
	v_add_f64 v[82:83], v[82:83], v[90:91]
	v_add_f64 v[14:15], v[14:15], v[22:23]
	;; [unrolled: 1-line block ×3, first 2 shown]
	v_add_f64 v[6:7], v[6:7], -v[10:11]
	v_add_f64 v[78:79], v[78:79], v[88:89]
	v_add_f64 v[12:13], v[12:13], v[20:21]
	;; [unrolled: 1-line block ×3, first 2 shown]
	v_add_f64 v[4:5], v[4:5], -v[8:9]
	v_add_f64 v[88:89], v[250:251], -v[254:255]
	v_add_f64 v[84:85], v[84:85], v[92:93]
	v_mul_f64 v[30:31], v[22:23], s[16:17]
	v_mul_f64 v[8:9], v[6:7], s[28:29]
	v_add_f64 v[76:77], v[76:77], v[86:87]
	v_add_f64 v[86:87], v[248:249], -v[252:253]
	v_fma_f64 v[10:11], v[20:21], s[24:25], v[8:9]
	v_fma_f64 v[8:9], v[20:21], s[24:25], -v[8:9]
	v_add_f64 v[10:11], v[10:11], v[18:19]
	v_mul_f64 v[18:19], v[22:23], s[24:25]
	v_add_f64 v[8:9], v[8:9], v[16:17]
	v_fma_f64 v[28:29], v[4:5], s[42:43], v[18:19]
	v_fma_f64 v[16:17], v[4:5], s[28:29], v[18:19]
	v_mul_f64 v[18:19], v[6:7], s[30:31]
	v_add_f64 v[28:29], v[28:29], v[36:37]
	v_add_f64 v[16:17], v[16:17], v[24:25]
	v_fma_f64 v[24:25], v[20:21], s[16:17], v[18:19]
	v_fma_f64 v[18:19], v[20:21], s[16:17], -v[18:19]
	v_mul_f64 v[36:37], v[22:23], s[4:5]
	v_add_f64 v[24:25], v[24:25], v[32:33]
	v_fma_f64 v[32:33], v[4:5], s[18:19], v[30:31]
	v_add_f64 v[18:19], v[18:19], v[26:27]
	v_fma_f64 v[26:27], v[4:5], s[30:31], v[30:31]
	v_mul_f64 v[30:31], v[6:7], s[12:13]
	v_add_f64 v[32:33], v[32:33], v[40:41]
	v_fma_f64 v[40:41], v[4:5], s[38:39], v[36:37]
	v_add_f64 v[26:27], v[26:27], v[34:35]
	v_fma_f64 v[34:35], v[20:21], s[4:5], v[30:31]
	v_fma_f64 v[30:31], v[20:21], s[4:5], -v[30:31]
	v_fma_f64 v[36:37], v[4:5], s[12:13], v[36:37]
	v_add_f64 v[40:41], v[40:41], v[48:49]
	v_add_f64 v[34:35], v[34:35], v[42:43]
	v_add_f64 v[30:31], v[30:31], v[38:39]
	v_mul_f64 v[38:39], v[6:7], s[44:45]
	v_add_f64 v[36:37], v[36:37], v[44:45]
	v_mul_f64 v[44:45], v[22:23], s[34:35]
	v_fma_f64 v[42:43], v[20:21], s[34:35], v[38:39]
	v_fma_f64 v[38:39], v[20:21], s[34:35], -v[38:39]
	v_fma_f64 v[48:49], v[4:5], s[36:37], v[44:45]
	v_fma_f64 v[44:45], v[4:5], s[44:45], v[44:45]
	v_add_f64 v[42:43], v[42:43], v[50:51]
	v_add_f64 v[38:39], v[38:39], v[46:47]
	v_mul_f64 v[46:47], v[6:7], s[26:27]
	v_add_f64 v[44:45], v[44:45], v[52:53]
	v_mul_f64 v[52:53], v[22:23], s[0:1]
	v_mul_f64 v[6:7], v[6:7], s[22:23]
	;; [unrolled: 1-line block ×3, first 2 shown]
	v_add_f64 v[48:49], v[48:49], v[54:55]
	v_fma_f64 v[50:51], v[20:21], s[0:1], v[46:47]
	v_fma_f64 v[46:47], v[20:21], s[0:1], -v[46:47]
	v_fma_f64 v[54:55], v[4:5], s[2:3], v[52:53]
	v_fma_f64 v[52:53], v[4:5], s[26:27], v[52:53]
	v_add_f64 v[50:51], v[50:51], v[74:75]
	v_add_f64 v[46:47], v[46:47], v[72:73]
	v_fma_f64 v[72:73], v[20:21], s[20:21], v[6:7]
	v_fma_f64 v[74:75], v[4:5], s[40:41], v[22:23]
	;; [unrolled: 1-line block ×3, first 2 shown]
	v_add_f64 v[54:55], v[54:55], v[78:79]
	v_fma_f64 v[6:7], v[20:21], s[20:21], -v[6:7]
	v_add_f64 v[52:53], v[52:53], v[76:77]
	v_add_f64 v[72:73], v[72:73], v[82:83]
	;; [unrolled: 1-line block ×4, first 2 shown]
	v_mul_f64 v[12:13], v[88:89], s[36:37]
	v_add_f64 v[74:75], v[74:75], v[84:85]
	v_add_f64 v[84:85], v[250:251], v[254:255]
	;; [unrolled: 1-line block ×3, first 2 shown]
	v_fma_f64 v[4:5], v[82:83], s[34:35], v[12:13]
	v_fma_f64 v[12:13], v[82:83], s[34:35], -v[12:13]
	v_mul_f64 v[20:21], v[84:85], s[0:1]
	v_add_f64 v[4:5], v[4:5], v[10:11]
	v_mul_f64 v[10:11], v[84:85], s[34:35]
	v_add_f64 v[8:9], v[12:13], v[8:9]
	v_fma_f64 v[14:15], v[86:87], s[2:3], v[20:21]
	v_fma_f64 v[6:7], v[86:87], s[44:45], v[10:11]
	;; [unrolled: 1-line block ×3, first 2 shown]
	v_add_f64 v[14:15], v[14:15], v[32:33]
	v_mul_f64 v[32:33], v[88:89], s[38:39]
	v_add_f64 v[6:7], v[6:7], v[28:29]
	v_add_f64 v[10:11], v[10:11], v[16:17]
	v_mul_f64 v[16:17], v[88:89], s[26:27]
	v_fma_f64 v[28:29], v[82:83], s[4:5], v[32:33]
	v_fma_f64 v[32:33], v[82:83], s[4:5], -v[32:33]
	v_fma_f64 v[12:13], v[82:83], s[0:1], v[16:17]
	v_fma_f64 v[16:17], v[82:83], s[0:1], -v[16:17]
	v_add_f64 v[28:29], v[28:29], v[42:43]
	v_mul_f64 v[42:43], v[84:85], s[20:21]
	v_add_f64 v[32:33], v[32:33], v[38:39]
	v_add_f64 v[12:13], v[12:13], v[24:25]
	;; [unrolled: 1-line block ×3, first 2 shown]
	v_fma_f64 v[18:19], v[86:87], s[26:27], v[20:21]
	v_mul_f64 v[24:25], v[88:89], s[28:29]
	v_fma_f64 v[38:39], v[86:87], s[40:41], v[42:43]
	v_fma_f64 v[42:43], v[86:87], s[22:23], v[42:43]
	v_add_f64 v[18:19], v[18:19], v[26:27]
	v_mul_f64 v[26:27], v[84:85], s[24:25]
	v_fma_f64 v[20:21], v[82:83], s[24:25], v[24:25]
	v_fma_f64 v[24:25], v[82:83], s[24:25], -v[24:25]
	v_add_f64 v[38:39], v[38:39], v[54:55]
	v_add_f64 v[42:43], v[42:43], v[52:53]
	v_fma_f64 v[22:23], v[86:87], s[42:43], v[26:27]
	v_add_f64 v[20:21], v[20:21], v[34:35]
	v_fma_f64 v[26:27], v[86:87], s[28:29], v[26:27]
	v_mul_f64 v[34:35], v[84:85], s[4:5]
	v_add_f64 v[24:25], v[24:25], v[30:31]
	v_add_f64 v[22:23], v[22:23], v[40:41]
	v_mul_f64 v[40:41], v[88:89], s[22:23]
	v_add_f64 v[26:27], v[26:27], v[36:37]
	v_fma_f64 v[30:31], v[86:87], s[12:13], v[34:35]
	v_fma_f64 v[34:35], v[86:87], s[38:39], v[34:35]
	;; [unrolled: 1-line block ×3, first 2 shown]
	v_fma_f64 v[40:41], v[82:83], s[20:21], -v[40:41]
	v_add_f64 v[30:31], v[30:31], v[48:49]
	v_mul_f64 v[48:49], v[88:89], s[30:31]
	v_add_f64 v[34:35], v[34:35], v[44:45]
	v_add_f64 v[36:37], v[36:37], v[50:51]
	v_mul_f64 v[50:51], v[84:85], s[16:17]
	v_add_f64 v[40:41], v[40:41], v[46:47]
	v_fma_f64 v[44:45], v[82:83], s[16:17], v[48:49]
	v_fma_f64 v[48:49], v[82:83], s[16:17], -v[48:49]
	v_fma_f64 v[46:47], v[86:87], s[18:19], v[50:51]
	v_fma_f64 v[50:51], v[86:87], s[30:31], v[50:51]
	v_add_f64 v[44:45], v[44:45], v[72:73]
	v_add_f64 v[48:49], v[48:49], v[76:77]
	;; [unrolled: 1-line block ×4, first 2 shown]
	ds_write_b128 v110, v[0:3]
	ds_write_b128 v110, v[4:7] offset:16
	ds_write_b128 v110, v[12:15] offset:32
	;; [unrolled: 1-line block ×12, first 2 shown]
	s_and_saveexec_b64 s[46:47], vcc
	s_cbranch_execz .LBB0_13
; %bb.12:
	buffer_store_dword v186, off, s[52:55], 0 offset:476 ; 4-byte Folded Spill
	s_nop 0
	buffer_store_dword v187, off, s[52:55], 0 offset:480 ; 4-byte Folded Spill
	buffer_store_dword v188, off, s[52:55], 0 offset:484 ; 4-byte Folded Spill
	buffer_store_dword v189, off, s[52:55], 0 offset:488 ; 4-byte Folded Spill
	buffer_store_dword v190, off, s[52:55], 0 offset:492 ; 4-byte Folded Spill
	s_nop 0
	buffer_store_dword v191, off, s[52:55], 0 offset:496 ; 4-byte Folded Spill
	buffer_store_dword v192, off, s[52:55], 0 offset:500 ; 4-byte Folded Spill
	buffer_store_dword v193, off, s[52:55], 0 offset:504 ; 4-byte Folded Spill
	;; [unrolled: 5-line block ×3, first 2 shown]
	v_mov_b32_e32 v188, v173
	buffer_store_dword v174, off, s[52:55], 0 offset:460 ; 4-byte Folded Spill
	s_nop 0
	buffer_store_dword v175, off, s[52:55], 0 offset:464 ; 4-byte Folded Spill
	buffer_store_dword v176, off, s[52:55], 0 offset:468 ; 4-byte Folded Spill
	;; [unrolled: 1-line block ×3, first 2 shown]
	v_mov_b32_e32 v193, v181
	v_mov_b32_e32 v187, v172
	;; [unrolled: 1-line block ×31, first 2 shown]
	buffer_load_dword v132, off, s[52:55], 0 offset:4 ; 4-byte Folded Reload
	buffer_load_dword v133, off, s[52:55], 0 offset:8 ; 4-byte Folded Reload
	buffer_load_dword v134, off, s[52:55], 0 offset:12 ; 4-byte Folded Reload
	buffer_load_dword v135, off, s[52:55], 0 offset:16 ; 4-byte Folded Reload
	v_add_f64 v[72:73], v[208:209], -v[236:237]
	v_add_f64 v[36:37], v[212:213], -v[244:245]
	v_add_f64 v[20:21], v[210:211], v[238:239]
	v_add_f64 v[42:43], v[210:211], -v[238:239]
	v_add_f64 v[32:33], v[220:221], -v[240:241]
	v_add_f64 v[18:19], v[214:215], v[246:247]
	v_add_f64 v[48:49], v[214:215], -v[246:247]
	v_add_f64 v[38:39], v[208:209], v[236:237]
	v_mul_f64 v[2:3], v[72:73], s[26:27]
	v_mul_f64 v[6:7], v[36:37], s[28:29]
	v_add_f64 v[28:29], v[224:225], -v[232:233]
	v_mul_f64 v[78:79], v[42:43], s[26:27]
	v_add_f64 v[16:17], v[222:223], v[242:243]
	v_add_f64 v[52:53], v[222:223], -v[242:243]
	v_mul_f64 v[76:77], v[32:33], s[38:39]
	v_add_f64 v[34:35], v[212:213], v[244:245]
	v_fma_f64 v[10:11], v[20:21], s[0:1], v[2:3]
	v_fma_f64 v[50:51], v[18:19], s[24:25], v[6:7]
	v_mul_f64 v[82:83], v[48:49], s[28:29]
	v_fma_f64 v[86:87], v[38:39], s[0:1], -v[78:79]
	v_fma_f64 v[2:3], v[20:21], s[0:1], -v[2:3]
	v_add_f64 v[24:25], v[216:217], -v[228:229]
	v_add_f64 v[14:15], v[226:227], v[234:235]
	v_add_f64 v[46:47], v[226:227], -v[234:235]
	v_add_f64 v[26:27], v[220:221], v[240:241]
	v_fma_f64 v[84:85], v[16:17], s[4:5], v[76:77]
	v_mul_f64 v[90:91], v[52:53], s[38:39]
	v_fma_f64 v[94:95], v[34:35], s[24:25], -v[82:83]
	v_fma_f64 v[6:7], v[18:19], s[24:25], -v[6:7]
	v_add_f64 v[12:13], v[218:219], v[230:231]
	v_add_f64 v[30:31], v[218:219], -v[230:231]
	v_mul_f64 v[88:89], v[24:25], s[30:31]
	v_fma_f64 v[76:77], v[16:17], s[4:5], -v[76:77]
	v_fma_f64 v[78:79], v[38:39], s[0:1], v[78:79]
	v_fma_f64 v[82:83], v[34:35], s[24:25], v[82:83]
	v_mul_f64 v[96:97], v[32:33], s[44:45]
	v_mul_f64 v[100:101], v[52:53], s[44:45]
	;; [unrolled: 1-line block ×5, first 2 shown]
	v_mov_b32_e32 v172, v157
	v_mov_b32_e32 v171, v156
	;; [unrolled: 1-line block ×4, first 2 shown]
	v_fma_f64 v[106:107], v[26:27], s[34:35], -v[100:101]
	v_mov_b32_e32 v156, v141
	v_fma_f64 v[252:253], v[26:27], s[16:17], -v[114:115]
	v_mov_b32_e32 v81, v136
	v_mov_b32_e32 v152, v113
	;; [unrolled: 1-line block ×18, first 2 shown]
	v_mul_f64 v[124:125], v[28:29], s[30:31]
	v_mov_b32_e32 v147, v131
	v_mov_b32_e32 v146, v130
	;; [unrolled: 1-line block ×4, first 2 shown]
	v_add_f64 v[130:131], v[200:201], v[204:205]
	v_fma_f64 v[128:129], v[14:15], s[16:17], v[124:125]
	v_fma_f64 v[124:125], v[14:15], s[16:17], -v[124:125]
	s_waitcnt vmcnt(2)
	v_add_f64 v[74:75], v[204:205], -v[132:133]
	s_waitcnt vmcnt(0)
	v_add_f64 v[22:23], v[206:207], v[134:135]
	v_add_f64 v[44:45], v[206:207], -v[134:135]
	v_add_f64 v[40:41], v[204:205], v[132:133]
	v_mul_f64 v[0:1], v[74:75], s[36:37]
	v_mul_f64 v[8:9], v[44:45], s[36:37]
	v_fma_f64 v[4:5], v[22:23], s[34:35], v[0:1]
	v_fma_f64 v[0:1], v[22:23], s[34:35], -v[0:1]
	v_fma_f64 v[54:55], v[40:41], s[34:35], -v[8:9]
	v_fma_f64 v[8:9], v[40:41], s[34:35], v[8:9]
	v_add_f64 v[4:5], v[202:203], v[4:5]
	v_add_f64 v[0:1], v[202:203], v[0:1]
	;; [unrolled: 1-line block ×5, first 2 shown]
	v_mul_f64 v[10:11], v[28:29], s[22:23]
	v_add_f64 v[54:55], v[86:87], v[54:55]
	v_add_f64 v[0:1], v[2:3], v[0:1]
	v_fma_f64 v[2:3], v[26:27], s[4:5], -v[90:91]
	v_add_f64 v[8:9], v[78:79], v[8:9]
	v_fma_f64 v[78:79], v[12:13], s[16:17], -v[88:89]
	v_add_f64 v[4:5], v[50:51], v[4:5]
	v_fma_f64 v[92:93], v[14:15], s[20:21], v[10:11]
	v_add_f64 v[50:51], v[224:225], v[232:233]
	v_add_f64 v[86:87], v[94:95], v[54:55]
	;; [unrolled: 1-line block ×4, first 2 shown]
	v_mul_f64 v[94:95], v[30:31], s[30:31]
	v_fma_f64 v[10:11], v[14:15], s[20:21], -v[10:11]
	v_add_f64 v[4:5], v[84:85], v[4:5]
	v_mul_f64 v[84:85], v[46:47], s[22:23]
	v_add_f64 v[8:9], v[82:83], v[8:9]
	v_add_f64 v[2:3], v[2:3], v[86:87]
	v_fma_f64 v[86:87], v[12:13], s[16:17], v[88:89]
	v_add_f64 v[0:1], v[76:77], v[0:1]
	v_fma_f64 v[76:77], v[54:55], s[16:17], -v[94:95]
	v_fma_f64 v[88:89], v[26:27], s[4:5], v[90:91]
	v_add_f64 v[4:5], v[92:93], v[4:5]
	v_fma_f64 v[6:7], v[50:51], s[20:21], -v[84:85]
	v_mul_f64 v[90:91], v[74:75], s[28:29]
	v_mul_f64 v[82:83], v[72:73], s[30:31]
	v_add_f64 v[10:11], v[10:11], v[0:1]
	v_add_f64 v[8:9], v[88:89], v[8:9]
	v_mul_f64 v[88:89], v[36:37], s[12:13]
	v_add_f64 v[6:7], v[6:7], v[2:3]
	v_add_f64 v[2:3], v[86:87], v[4:5]
	v_mul_f64 v[4:5], v[44:45], s[28:29]
	v_fma_f64 v[86:87], v[54:55], s[16:17], v[94:95]
	v_fma_f64 v[92:93], v[20:21], s[16:17], v[82:83]
	v_fma_f64 v[82:83], v[20:21], s[16:17], -v[82:83]
	v_fma_f64 v[98:99], v[18:19], s[4:5], v[88:89]
	v_add_f64 v[0:1], v[76:77], v[6:7]
	v_fma_f64 v[76:77], v[50:51], s[20:21], v[84:85]
	v_fma_f64 v[84:85], v[22:23], s[24:25], v[90:91]
	v_add_f64 v[6:7], v[78:79], v[10:11]
	v_mul_f64 v[10:11], v[42:43], s[30:31]
	v_fma_f64 v[78:79], v[40:41], s[24:25], -v[4:5]
	v_fma_f64 v[90:91], v[22:23], s[24:25], -v[90:91]
	;; [unrolled: 1-line block ×3, first 2 shown]
	v_fma_f64 v[4:5], v[40:41], s[24:25], v[4:5]
	v_add_f64 v[8:9], v[76:77], v[8:9]
	v_add_f64 v[84:85], v[202:203], v[84:85]
	v_mul_f64 v[76:77], v[48:49], s[12:13]
	v_fma_f64 v[94:95], v[38:39], s[16:17], -v[10:11]
	v_add_f64 v[78:79], v[200:201], v[78:79]
	v_add_f64 v[90:91], v[202:203], v[90:91]
	;; [unrolled: 1-line block ×5, first 2 shown]
	v_fma_f64 v[102:103], v[34:35], s[4:5], -v[76:77]
	v_mul_f64 v[92:93], v[28:29], s[26:27]
	v_add_f64 v[78:79], v[94:95], v[78:79]
	v_fma_f64 v[94:95], v[16:17], s[34:35], v[96:97]
	v_add_f64 v[82:83], v[82:83], v[90:91]
	v_mul_f64 v[90:91], v[30:31], s[22:23]
	v_fma_f64 v[96:97], v[16:17], s[34:35], -v[96:97]
	v_add_f64 v[84:85], v[98:99], v[84:85]
	v_mul_f64 v[98:99], v[24:25], s[22:23]
	v_fma_f64 v[86:87], v[14:15], s[0:1], -v[92:93]
	v_add_f64 v[78:79], v[102:103], v[78:79]
	v_fma_f64 v[102:103], v[14:15], s[0:1], v[92:93]
	v_add_f64 v[82:83], v[88:89], v[82:83]
	v_fma_f64 v[88:89], v[54:55], s[20:21], -v[90:91]
	v_fma_f64 v[76:77], v[34:35], s[4:5], v[76:77]
	v_add_f64 v[84:85], v[94:95], v[84:85]
	v_fma_f64 v[94:95], v[50:51], s[0:1], -v[104:105]
	v_fma_f64 v[90:91], v[54:55], s[20:21], v[90:91]
	v_add_f64 v[78:79], v[106:107], v[78:79]
	v_fma_f64 v[106:107], v[12:13], s[20:21], v[98:99]
	v_add_f64 v[82:83], v[96:97], v[82:83]
	v_add_f64 v[84:85], v[102:103], v[84:85]
	v_fma_f64 v[102:103], v[38:39], s[16:17], v[10:11]
	v_add_f64 v[78:79], v[94:95], v[78:79]
	v_mul_f64 v[94:95], v[72:73], s[42:43]
	v_add_f64 v[82:83], v[86:87], v[82:83]
	v_fma_f64 v[86:87], v[26:27], s[34:35], v[100:101]
	v_fma_f64 v[100:101], v[50:51], s[0:1], v[104:105]
	v_add_f64 v[10:11], v[106:107], v[84:85]
	v_mul_f64 v[84:85], v[74:75], s[22:23]
	v_add_f64 v[92:93], v[102:103], v[109:110]
	v_add_f64 v[8:9], v[88:89], v[78:79]
	v_mul_f64 v[88:89], v[44:45], s[22:23]
	v_fma_f64 v[78:79], v[12:13], s[20:21], -v[98:99]
	v_mul_f64 v[102:103], v[36:37], s[26:27]
	v_fma_f64 v[104:105], v[20:21], s[24:25], v[94:95]
	v_mul_f64 v[109:110], v[32:33], s[18:19]
	v_fma_f64 v[96:97], v[22:23], s[20:21], v[84:85]
	v_add_f64 v[76:77], v[76:77], v[92:93]
	v_mul_f64 v[92:93], v[42:43], s[42:43]
	v_fma_f64 v[98:99], v[40:41], s[20:21], -v[88:89]
	v_fma_f64 v[84:85], v[22:23], s[20:21], -v[84:85]
	v_fma_f64 v[111:112], v[18:19], s[0:1], v[102:103]
	v_fma_f64 v[94:95], v[20:21], s[24:25], -v[94:95]
	v_fma_f64 v[102:103], v[18:19], s[0:1], -v[102:103]
	v_add_f64 v[96:97], v[202:203], v[96:97]
	v_add_f64 v[76:77], v[86:87], v[76:77]
	v_mul_f64 v[86:87], v[48:49], s[26:27]
	v_fma_f64 v[106:107], v[38:39], s[24:25], -v[92:93]
	v_add_f64 v[98:99], v[200:201], v[98:99]
	v_add_f64 v[84:85], v[202:203], v[84:85]
	;; [unrolled: 1-line block ×3, first 2 shown]
	v_fma_f64 v[88:89], v[40:41], s[20:21], v[88:89]
	v_add_f64 v[96:97], v[104:105], v[96:97]
	v_mul_f64 v[104:105], v[28:29], s[44:45]
	v_fma_f64 v[248:249], v[34:35], s[0:1], -v[86:87]
	v_add_f64 v[76:77], v[100:101], v[76:77]
	v_add_f64 v[98:99], v[106:107], v[98:99]
	v_fma_f64 v[106:107], v[16:17], s[16:17], v[109:110]
	v_add_f64 v[84:85], v[94:95], v[84:85]
	v_mul_f64 v[100:101], v[30:31], s[38:39]
	v_add_f64 v[96:97], v[111:112], v[96:97]
	v_mul_f64 v[111:112], v[24:25], s[38:39]
	v_fma_f64 v[94:95], v[14:15], s[34:35], v[104:105]
	v_fma_f64 v[109:110], v[16:17], s[16:17], -v[109:110]
	v_add_f64 v[98:99], v[248:249], v[98:99]
	v_add_f64 v[76:77], v[90:91], v[76:77]
	;; [unrolled: 1-line block ×3, first 2 shown]
	v_fma_f64 v[82:83], v[54:55], s[4:5], -v[100:101]
	v_add_f64 v[96:97], v[106:107], v[96:97]
	v_fma_f64 v[106:107], v[50:51], s[34:35], -v[250:251]
	v_fma_f64 v[102:103], v[12:13], s[4:5], v[111:112]
	v_fma_f64 v[90:91], v[38:39], s[24:25], v[92:93]
	v_add_f64 v[98:99], v[252:253], v[98:99]
	v_mul_f64 v[92:93], v[74:75], s[18:19]
	v_add_f64 v[88:89], v[200:201], v[88:89]
	v_fma_f64 v[86:87], v[34:35], s[0:1], v[86:87]
	v_add_f64 v[94:95], v[94:95], v[96:97]
	v_mul_f64 v[248:249], v[32:33], s[26:27]
	v_add_f64 v[96:97], v[106:107], v[98:99]
	v_fma_f64 v[98:99], v[14:15], s[34:35], -v[104:105]
	v_add_f64 v[104:105], v[109:110], v[84:85]
	v_add_f64 v[88:89], v[90:91], v[88:89]
	;; [unrolled: 1-line block ×3, first 2 shown]
	v_mul_f64 v[102:103], v[72:73], s[36:37]
	v_fma_f64 v[94:95], v[12:13], s[4:5], -v[111:112]
	v_fma_f64 v[90:91], v[54:55], s[4:5], v[100:101]
	v_add_f64 v[82:83], v[82:83], v[96:97]
	v_fma_f64 v[100:101], v[26:27], s[16:17], v[114:115]
	v_add_f64 v[96:97], v[98:99], v[104:105]
	v_mul_f64 v[98:99], v[44:45], s[18:19]
	v_fma_f64 v[104:105], v[22:23], s[16:17], v[92:93]
	v_mul_f64 v[106:107], v[36:37], s[40:41]
	v_mul_f64 v[109:110], v[42:43], s[36:37]
	v_fma_f64 v[114:115], v[20:21], s[34:35], v[102:103]
	v_add_f64 v[86:87], v[86:87], v[88:89]
	v_fma_f64 v[88:89], v[50:51], s[34:35], v[250:251]
	v_mul_f64 v[250:251], v[48:49], s[40:41]
	v_fma_f64 v[111:112], v[40:41], s[16:17], -v[98:99]
	v_add_f64 v[104:105], v[202:203], v[104:105]
	v_fma_f64 v[254:255], v[18:19], s[20:21], v[106:107]
	v_fma_f64 v[252:253], v[38:39], s[34:35], -v[109:110]
	v_fma_f64 v[92:93], v[22:23], s[16:17], -v[92:93]
	v_add_f64 v[86:87], v[100:101], v[86:87]
	v_mul_f64 v[100:101], v[28:29], s[12:13]
	v_fma_f64 v[116:117], v[34:35], s[20:21], -v[250:251]
	v_add_f64 v[111:112], v[200:201], v[111:112]
	v_add_f64 v[104:105], v[114:115], v[104:105]
	v_mul_f64 v[114:115], v[52:53], s[26:27]
	v_fma_f64 v[118:119], v[16:17], s[0:1], v[248:249]
	v_fma_f64 v[102:103], v[20:21], s[34:35], -v[102:103]
	v_add_f64 v[92:93], v[202:203], v[92:93]
	v_fma_f64 v[106:107], v[18:19], s[20:21], -v[106:107]
	v_add_f64 v[86:87], v[88:89], v[86:87]
	v_add_f64 v[111:112], v[252:253], v[111:112]
	;; [unrolled: 1-line block ×3, first 2 shown]
	v_mul_f64 v[252:253], v[24:25], s[28:29]
	v_fma_f64 v[120:121], v[26:27], s[0:1], -v[114:115]
	v_mul_f64 v[254:255], v[46:47], s[12:13]
	v_add_f64 v[92:93], v[102:103], v[92:93]
	v_add_f64 v[88:89], v[94:95], v[96:97]
	v_fma_f64 v[96:97], v[16:17], s[0:1], -v[248:249]
	v_add_f64 v[111:112], v[116:117], v[111:112]
	v_fma_f64 v[116:117], v[14:15], s[4:5], v[100:101]
	v_add_f64 v[104:105], v[118:119], v[104:105]
	v_mul_f64 v[118:119], v[30:31], s[28:29]
	v_fma_f64 v[122:123], v[50:51], s[4:5], -v[254:255]
	v_add_f64 v[106:107], v[106:107], v[92:93]
	v_fma_f64 v[98:99], v[40:41], s[16:17], v[98:99]
	v_fma_f64 v[100:101], v[14:15], s[4:5], -v[100:101]
	v_add_f64 v[102:103], v[120:121], v[111:112]
	v_fma_f64 v[111:112], v[12:13], s[24:25], v[252:253]
	v_add_f64 v[104:105], v[116:117], v[104:105]
	v_fma_f64 v[94:95], v[54:55], s[24:25], -v[118:119]
	v_mul_f64 v[120:121], v[36:37], s[36:37]
	v_add_f64 v[96:97], v[96:97], v[106:107]
	v_mul_f64 v[106:107], v[72:73], s[22:23]
	v_add_f64 v[86:87], v[90:91], v[86:87]
	v_add_f64 v[102:103], v[122:123], v[102:103]
	v_fma_f64 v[109:110], v[38:39], s[34:35], v[109:110]
	v_add_f64 v[92:93], v[111:112], v[104:105]
	v_mul_f64 v[104:105], v[74:75], s[12:13]
	v_add_f64 v[98:99], v[200:201], v[98:99]
	v_fma_f64 v[116:117], v[34:35], s[20:21], v[250:251]
	v_fma_f64 v[122:123], v[20:21], s[20:21], v[106:107]
	v_add_f64 v[96:97], v[100:101], v[96:97]
	v_add_f64 v[90:91], v[94:95], v[102:103]
	v_mul_f64 v[94:95], v[44:45], s[12:13]
	v_fma_f64 v[102:103], v[12:13], s[24:25], -v[252:253]
	v_fma_f64 v[111:112], v[22:23], s[4:5], v[104:105]
	v_mul_f64 v[252:253], v[32:33], s[42:43]
	v_fma_f64 v[250:251], v[18:19], s[34:35], v[120:121]
	v_add_f64 v[98:99], v[109:110], v[98:99]
	v_mul_f64 v[100:101], v[42:43], s[22:23]
	v_fma_f64 v[114:115], v[26:27], s[0:1], v[114:115]
	v_fma_f64 v[109:110], v[40:41], s[4:5], -v[94:95]
	v_fma_f64 v[106:107], v[20:21], s[20:21], -v[106:107]
	v_add_f64 v[111:112], v[202:203], v[111:112]
	v_fma_f64 v[126:127], v[16:17], s[24:25], v[252:253]
	v_fma_f64 v[94:95], v[40:41], s[4:5], v[94:95]
	v_add_f64 v[98:99], v[116:117], v[98:99]
	v_mul_f64 v[116:117], v[48:49], s[36:37]
	v_fma_f64 v[248:249], v[38:39], s[20:21], -v[100:101]
	v_add_f64 v[109:110], v[200:201], v[109:110]
	v_mul_f64 v[74:75], v[74:75], s[2:3]
	v_add_f64 v[111:112], v[122:123], v[111:112]
	v_fma_f64 v[122:123], v[50:51], s[4:5], v[254:255]
	v_fma_f64 v[120:121], v[18:19], s[34:35], -v[120:121]
	v_add_f64 v[98:99], v[114:115], v[98:99]
	v_mul_f64 v[114:115], v[52:53], s[42:43]
	v_fma_f64 v[254:255], v[34:35], s[34:35], -v[116:117]
	v_add_f64 v[109:110], v[248:249], v[109:110]
	v_fma_f64 v[100:101], v[38:39], s[20:21], v[100:101]
	v_add_f64 v[111:112], v[250:251], v[111:112]
	v_add_f64 v[250:251], v[102:103], v[96:97]
	v_fma_f64 v[96:97], v[22:23], s[4:5], -v[104:105]
	v_add_f64 v[94:95], v[200:201], v[94:95]
	v_mul_f64 v[72:73], v[72:73], s[12:13]
	v_add_f64 v[98:99], v[122:123], v[98:99]
	v_mul_f64 v[122:123], v[46:47], s[30:31]
	v_fma_f64 v[248:249], v[26:27], s[24:25], -v[114:115]
	v_add_f64 v[111:112], v[126:127], v[111:112]
	v_fma_f64 v[126:127], v[22:23], s[0:1], v[74:75]
	v_add_f64 v[96:97], v[202:203], v[96:97]
	v_add_f64 v[109:110], v[254:255], v[109:110]
	v_fma_f64 v[116:117], v[34:35], s[34:35], v[116:117]
	v_add_f64 v[94:95], v[100:101], v[94:95]
	v_mul_f64 v[36:37], v[36:37], s[18:19]
	v_fma_f64 v[100:101], v[20:21], s[4:5], v[72:73]
	v_add_f64 v[111:112], v[128:129], v[111:112]
	v_add_f64 v[128:129], v[202:203], v[206:207]
	v_add_f64 v[96:97], v[106:107], v[96:97]
	v_fma_f64 v[106:107], v[16:17], s[24:25], -v[252:253]
	v_mul_f64 v[254:255], v[24:25], s[26:27]
	v_fma_f64 v[104:105], v[50:51], s[16:17], -v[122:123]
	v_add_f64 v[109:110], v[248:249], v[109:110]
	v_add_f64 v[94:95], v[116:117], v[94:95]
	v_mul_f64 v[44:45], v[44:45], s[2:3]
	v_fma_f64 v[22:23], v[22:23], s[0:1], -v[74:75]
	v_add_f64 v[96:97], v[120:121], v[96:97]
	v_add_f64 v[120:121], v[202:203], v[126:127]
	;; [unrolled: 1-line block ×5, first 2 shown]
	v_fma_f64 v[109:110], v[12:13], s[0:1], -v[254:255]
	v_mul_f64 v[42:43], v[42:43], s[12:13]
	v_mul_f64 v[48:49], v[48:49], s[18:19]
	v_add_f64 v[96:97], v[106:107], v[96:97]
	v_fma_f64 v[106:107], v[26:27], s[24:25], v[114:115]
	v_fma_f64 v[114:115], v[18:19], s[16:17], v[36:37]
	v_add_f64 v[100:101], v[100:101], v[120:121]
	v_add_f64 v[116:117], v[126:127], v[214:215]
	;; [unrolled: 1-line block ×3, first 2 shown]
	v_fma_f64 v[20:21], v[20:21], s[4:5], -v[72:73]
	v_add_f64 v[22:23], v[202:203], v[22:23]
	v_add_f64 v[96:97], v[124:125], v[96:97]
	;; [unrolled: 1-line block ×3, first 2 shown]
	v_mul_f64 v[106:107], v[28:29], s[28:29]
	v_add_f64 v[100:101], v[114:115], v[100:101]
	v_add_f64 v[114:115], v[116:117], v[222:223]
	v_add_f64 v[116:117], v[120:121], v[220:221]
	v_mul_f64 v[32:33], v[32:33], s[22:23]
	v_mul_f64 v[52:53], v[52:53], s[22:23]
	v_add_f64 v[28:29], v[109:110], v[96:97]
	v_fma_f64 v[18:19], v[18:19], s[16:17], -v[36:37]
	v_add_f64 v[20:21], v[20:21], v[22:23]
	v_fma_f64 v[22:23], v[34:35], s[16:17], v[48:49]
	v_add_f64 v[109:110], v[114:115], v[226:227]
	v_add_f64 v[114:115], v[116:117], v[224:225]
	v_fma_f64 v[124:125], v[16:17], s[20:21], v[32:33]
	v_mul_f64 v[46:47], v[46:47], s[28:29]
	v_fma_f64 v[16:17], v[16:17], s[20:21], -v[32:33]
	v_fma_f64 v[118:119], v[54:55], s[24:25], v[118:119]
	v_add_f64 v[18:19], v[18:19], v[20:21]
	v_fma_f64 v[20:21], v[26:27], s[20:21], v[52:53]
	v_add_f64 v[74:75], v[109:110], v[218:219]
	v_add_f64 v[109:110], v[114:115], v[216:217]
	v_fma_f64 v[114:115], v[40:41], s[0:1], v[44:45]
	v_fma_f64 v[40:41], v[40:41], s[0:1], -v[44:45]
	v_fma_f64 v[44:45], v[38:39], s[4:5], v[42:43]
	v_fma_f64 v[38:39], v[38:39], s[4:5], -v[42:43]
	v_mul_f64 v[102:103], v[30:31], s[26:27]
	v_mul_f64 v[30:31], v[30:31], s[36:37]
	v_add_f64 v[72:73], v[74:75], v[230:231]
	v_add_f64 v[74:75], v[109:110], v[228:229]
	;; [unrolled: 1-line block ×4, first 2 shown]
	v_fma_f64 v[34:35], v[34:35], s[16:17], -v[48:49]
	v_add_f64 v[16:17], v[16:17], v[18:19]
	v_fma_f64 v[18:19], v[50:51], s[24:25], v[46:47]
	v_add_f64 v[248:249], v[118:119], v[98:99]
	v_add_f64 v[36:37], v[72:73], v[234:235]
	;; [unrolled: 1-line block ×5, first 2 shown]
	v_fma_f64 v[118:119], v[54:55], s[0:1], -v[102:103]
	v_fma_f64 v[96:97], v[54:55], s[0:1], v[102:103]
	v_fma_f64 v[102:103], v[14:15], s[24:25], v[106:107]
	v_fma_f64 v[14:15], v[14:15], s[24:25], -v[106:107]
	v_add_f64 v[32:33], v[36:37], v[242:243]
	v_add_f64 v[36:37], v[42:43], v[240:241]
	v_add_f64 v[22:23], v[22:23], v[44:45]
	v_mul_f64 v[24:25], v[24:25], s[36:37]
	v_fma_f64 v[26:27], v[26:27], s[20:21], -v[52:53]
	v_add_f64 v[34:35], v[34:35], v[38:39]
	v_fma_f64 v[38:39], v[54:55], s[34:35], v[30:31]
	v_add_f64 v[14:15], v[14:15], v[16:17]
	v_add_f64 v[32:33], v[32:33], v[246:247]
	;; [unrolled: 1-line block ×5, first 2 shown]
	v_fma_f64 v[98:99], v[12:13], s[0:1], v[254:255]
	v_mov_b32_e32 v128, v144
	v_mov_b32_e32 v124, v140
	v_add_f64 v[26:27], v[26:27], v[34:35]
	v_add_f64 v[16:17], v[32:33], v[238:239]
	;; [unrolled: 1-line block ×4, first 2 shown]
	v_fma_f64 v[34:35], v[12:13], s[34:35], -v[24:25]
	v_fma_f64 v[24:25], v[12:13], s[34:35], v[24:25]
	v_mov_b32_e32 v129, v145
	v_mov_b32_e32 v130, v146
	;; [unrolled: 1-line block ×5, first 2 shown]
	v_add_f64 v[12:13], v[38:39], v[20:21]
	v_add_f64 v[20:21], v[118:119], v[104:105]
	v_mov_b32_e32 v116, v136
	v_mov_b32_e32 v127, v143
	;; [unrolled: 1-line block ×3, first 2 shown]
	v_add_f64 v[18:19], v[16:17], v[134:135]
	v_add_f64 v[16:17], v[32:33], v[132:133]
	v_mov_b32_e32 v132, v148
	v_mov_b32_e32 v117, v137
	;; [unrolled: 1-line block ×8, first 2 shown]
	v_add_f64 v[36:37], v[102:103], v[100:101]
	v_mov_b32_e32 v133, v149
	v_mov_b32_e32 v134, v150
	;; [unrolled: 1-line block ×37, first 2 shown]
	buffer_load_dword v182, off, s[52:55], 0 offset:508 ; 4-byte Folded Reload
	buffer_load_dword v183, off, s[52:55], 0 offset:512 ; 4-byte Folded Reload
	;; [unrolled: 1-line block ×8, first 2 shown]
	v_mov_b32_e32 v179, v191
	v_mov_b32_e32 v180, v192
	;; [unrolled: 1-line block ×3, first 2 shown]
	buffer_load_dword v190, off, s[52:55], 0 offset:492 ; 4-byte Folded Reload
	buffer_load_dword v191, off, s[52:55], 0 offset:496 ; 4-byte Folded Reload
	;; [unrolled: 1-line block ×8, first 2 shown]
	v_add_f64 v[32:33], v[24:25], v[36:37]
	buffer_load_dword v24, off, s[52:55], 0 offset:452 ; 4-byte Folded Reload
	buffer_load_dword v25, off, s[52:55], 0 offset:456 ; 4-byte Folded Reload
	v_fma_f64 v[122:123], v[50:51], s[16:17], v[122:123]
	v_fma_f64 v[22:23], v[50:51], s[24:25], -v[46:47]
	v_fma_f64 v[30:31], v[54:55], s[34:35], -v[30:31]
	v_add_f64 v[14:15], v[34:35], v[14:15]
	v_mov_b32_e32 v136, v81
	v_add_f64 v[94:95], v[122:123], v[94:95]
	v_add_f64 v[40:41], v[22:23], v[26:27]
	;; [unrolled: 1-line block ×5, first 2 shown]
	s_waitcnt vmcnt(0)
	v_lshl_add_u32 v24, v25, 4, v24
	ds_write_b128 v24, v[16:19]
	ds_write_b128 v24, v[12:15] offset:16
	ds_write_b128 v24, v[26:29] offset:32
	;; [unrolled: 1-line block ×12, first 2 shown]
.LBB0_13:
	s_or_b64 exec, exec, s[46:47]
	s_waitcnt lgkmcnt(0)
	; wave barrier
	s_waitcnt lgkmcnt(0)
	ds_read_b128 v[4:7], v108 offset:1040
	ds_read_b128 v[8:11], v108 offset:1248
	;; [unrolled: 1-line block ×7, first 2 shown]
	s_waitcnt lgkmcnt(6)
	v_mul_f64 v[28:29], v[70:71], v[6:7]
	s_waitcnt lgkmcnt(5)
	v_mul_f64 v[34:35], v[70:71], v[8:9]
	;; [unrolled: 2-line block ×3, first 2 shown]
	v_mul_f64 v[38:39], v[66:67], v[16:17]
	v_mul_f64 v[30:31], v[70:71], v[4:5]
	;; [unrolled: 1-line block ×3, first 2 shown]
	s_mov_b32 s0, 0x134454ff
	s_mov_b32 s1, 0xbfee6f0e
	v_fma_f64 v[82:83], v[68:69], v[4:5], v[28:29]
	v_fma_f64 v[88:89], v[68:69], v[10:11], -v[34:35]
	s_waitcnt lgkmcnt(0)
	v_mul_f64 v[34:35], v[66:67], v[24:25]
	v_fma_f64 v[90:91], v[64:65], v[16:17], v[36:37]
	v_fma_f64 v[92:93], v[64:65], v[18:19], -v[38:39]
	v_mul_f64 v[36:37], v[62:63], v[22:23]
	v_mul_f64 v[38:39], v[62:63], v[20:21]
	v_fma_f64 v[84:85], v[68:69], v[6:7], -v[30:31]
	v_fma_f64 v[86:87], v[68:69], v[8:9], v[32:33]
	ds_read_b128 v[4:7], v108 offset:3328
	ds_read_b128 v[8:11], v108 offset:3536
	;; [unrolled: 1-line block ×3, first 2 shown]
	v_fma_f64 v[96:97], v[64:65], v[26:27], -v[34:35]
	ds_read_b128 v[16:19], v108 offset:4160
	v_mul_f64 v[32:33], v[66:67], v[26:27]
	v_fma_f64 v[98:99], v[60:61], v[20:21], v[36:37]
	v_fma_f64 v[100:101], v[60:61], v[22:23], -v[38:39]
	ds_read_b128 v[20:23], v108 offset:4368
	buffer_load_dword v34, off, s[52:55], 0 offset:292 ; 4-byte Folded Reload
	buffer_load_dword v35, off, s[52:55], 0 offset:296 ; 4-byte Folded Reload
	;; [unrolled: 1-line block ×4, first 2 shown]
	s_waitcnt lgkmcnt(4)
	v_mul_f64 v[26:27], v[62:63], v[4:5]
	s_mov_b32 s3, 0x3fee6f0e
	s_mov_b32 s2, s0
	v_fma_f64 v[94:95], v[64:65], v[24:25], v[32:33]
	v_mul_f64 v[24:25], v[62:63], v[6:7]
	s_waitcnt lgkmcnt(1)
	v_mul_f64 v[32:33], v[58:59], v[18:19]
	s_mov_b32 s4, 0x4755a5e
	s_mov_b32 s5, 0xbfe2cf23
	v_fma_f64 v[104:105], v[60:61], v[6:7], -v[26:27]
	s_waitcnt lgkmcnt(0)
	v_mul_f64 v[6:7], v[58:59], v[22:23]
	s_mov_b32 s13, 0x3fe2cf23
	s_mov_b32 s12, s4
	v_fma_f64 v[102:103], v[60:61], v[4:5], v[24:25]
	v_mul_f64 v[4:5], v[58:59], v[16:17]
	v_mul_f64 v[24:25], v[58:59], v[20:21]
	v_fma_f64 v[106:107], v[56:57], v[16:17], v[32:33]
	s_mov_b32 s16, 0x372fe950
	v_fma_f64 v[111:112], v[56:57], v[20:21], v[6:7]
	s_mov_b32 s17, 0x3fd3c6ef
	v_fma_f64 v[109:110], v[56:57], v[18:19], -v[4:5]
	v_fma_f64 v[114:115], v[56:57], v[22:23], -v[24:25]
	ds_read_b128 v[4:7], v108 offset:2496
	ds_read_b128 v[16:19], v108 offset:2704
	s_waitcnt vmcnt(0)
	v_mul_f64 v[26:27], v[36:37], v[14:15]
	v_mul_f64 v[32:33], v[36:37], v[12:13]
	v_fma_f64 v[66:67], v[34:35], v[12:13], v[26:27]
	v_fma_f64 v[64:65], v[34:35], v[14:15], -v[32:33]
	buffer_load_dword v32, off, s[52:55], 0 offset:276 ; 4-byte Folded Reload
	buffer_load_dword v33, off, s[52:55], 0 offset:280 ; 4-byte Folded Reload
	;; [unrolled: 1-line block ×8, first 2 shown]
	s_waitcnt vmcnt(4) lgkmcnt(1)
	v_mul_f64 v[12:13], v[34:35], v[6:7]
	v_mul_f64 v[14:15], v[34:35], v[4:5]
	s_waitcnt vmcnt(0)
	v_mul_f64 v[20:21], v[26:27], v[10:11]
	v_mul_f64 v[22:23], v[26:27], v[8:9]
	v_fma_f64 v[70:71], v[32:33], v[4:5], v[12:13]
	v_fma_f64 v[68:69], v[32:33], v[6:7], -v[14:15]
	ds_read_b128 v[4:7], v108 offset:4576
	ds_read_b128 v[12:15], v108 offset:4784
	v_fma_f64 v[74:75], v[24:25], v[8:9], v[20:21]
	v_fma_f64 v[72:73], v[24:25], v[10:11], -v[22:23]
	buffer_load_dword v24, off, s[52:55], 0 offset:244 ; 4-byte Folded Reload
	buffer_load_dword v25, off, s[52:55], 0 offset:248 ; 4-byte Folded Reload
	;; [unrolled: 1-line block ×4, first 2 shown]
	ds_read_b128 v[8:11], v108 offset:1664
	v_add_f64 v[120:121], v[70:71], -v[66:67]
	s_waitcnt vmcnt(0) lgkmcnt(2)
	v_mul_f64 v[20:21], v[26:27], v[6:7]
	v_mul_f64 v[22:23], v[26:27], v[4:5]
	v_fma_f64 v[78:79], v[24:25], v[4:5], v[20:21]
	v_fma_f64 v[76:77], v[24:25], v[6:7], -v[22:23]
	ds_read_b128 v[4:7], v108 offset:1872
	buffer_load_dword v24, off, s[52:55], 0 offset:356 ; 4-byte Folded Reload
	buffer_load_dword v25, off, s[52:55], 0 offset:360 ; 4-byte Folded Reload
	;; [unrolled: 1-line block ×4, first 2 shown]
	v_add_f64 v[122:123], v[74:75], -v[78:79]
	v_add_f64 v[120:121], v[120:121], v[122:123]
	s_waitcnt vmcnt(0) lgkmcnt(1)
	v_mul_f64 v[20:21], v[26:27], v[10:11]
	v_mul_f64 v[22:23], v[26:27], v[8:9]
	v_fma_f64 v[48:49], v[24:25], v[8:9], v[20:21]
	v_fma_f64 v[44:45], v[24:25], v[10:11], -v[22:23]
	buffer_load_dword v24, off, s[52:55], 0 offset:324 ; 4-byte Folded Reload
	buffer_load_dword v25, off, s[52:55], 0 offset:328 ; 4-byte Folded Reload
	;; [unrolled: 1-line block ×4, first 2 shown]
	ds_read_b128 v[8:11], v108 offset:3744
	s_waitcnt vmcnt(0)
	v_mul_f64 v[20:21], v[26:27], v[18:19]
	v_mul_f64 v[22:23], v[26:27], v[16:17]
	v_fma_f64 v[54:55], v[24:25], v[16:17], v[20:21]
	v_fma_f64 v[50:51], v[24:25], v[18:19], -v[22:23]
	ds_read_b128 v[16:19], v108 offset:3952
	buffer_load_dword v24, off, s[52:55], 0 offset:308 ; 4-byte Folded Reload
	buffer_load_dword v25, off, s[52:55], 0 offset:312 ; 4-byte Folded Reload
	;; [unrolled: 1-line block ×4, first 2 shown]
	s_waitcnt vmcnt(0) lgkmcnt(1)
	v_mul_f64 v[20:21], v[26:27], v[10:11]
	v_mul_f64 v[22:23], v[26:27], v[8:9]
	v_fma_f64 v[58:59], v[24:25], v[8:9], v[20:21]
	v_fma_f64 v[56:57], v[24:25], v[10:11], -v[22:23]
	buffer_load_dword v24, off, s[52:55], 0 offset:404 ; 4-byte Folded Reload
	buffer_load_dword v25, off, s[52:55], 0 offset:408 ; 4-byte Folded Reload
	;; [unrolled: 1-line block ×4, first 2 shown]
	v_mul_f64 v[8:9], v[118:119], v[14:15]
	v_mul_f64 v[10:11], v[118:119], v[12:13]
	buffer_load_dword v34, off, s[52:55], 0 offset:388 ; 4-byte Folded Reload
	buffer_load_dword v35, off, s[52:55], 0 offset:392 ; 4-byte Folded Reload
	;; [unrolled: 1-line block ×4, first 2 shown]
	v_fma_f64 v[62:63], v[116:117], v[12:13], v[8:9]
	v_fma_f64 v[60:61], v[116:117], v[14:15], -v[10:11]
	ds_read_b128 v[8:11], v108 offset:4992
	v_add_f64 v[122:123], v[58:59], -v[62:63]
	s_waitcnt vmcnt(4)
	v_mul_f64 v[20:21], v[26:27], v[6:7]
	v_mul_f64 v[22:23], v[26:27], v[4:5]
	s_waitcnt vmcnt(0)
	v_mul_f64 v[12:13], v[36:37], v[30:31]
	v_mul_f64 v[14:15], v[36:37], v[28:29]
	v_fma_f64 v[40:41], v[24:25], v[4:5], v[20:21]
	v_fma_f64 v[32:33], v[24:25], v[6:7], -v[22:23]
	buffer_load_dword v24, off, s[52:55], 0 offset:372 ; 4-byte Folded Reload
	buffer_load_dword v25, off, s[52:55], 0 offset:376 ; 4-byte Folded Reload
	;; [unrolled: 1-line block ×4, first 2 shown]
	v_fma_f64 v[42:43], v[34:35], v[28:29], v[12:13]
	v_add_f64 v[12:13], v[90:91], v[98:99]
	v_fma_f64 v[34:35], v[34:35], v[30:31], -v[14:15]
	s_waitcnt vmcnt(0) lgkmcnt(1)
	v_mul_f64 v[20:21], v[26:27], v[18:19]
	v_mul_f64 v[22:23], v[26:27], v[16:17]
	ds_read_b128 v[4:7], v108
	ds_read_b128 v[26:29], v108 offset:208
	buffer_load_dword v116, off, s[52:55], 0 offset:340 ; 4-byte Folded Reload
	buffer_load_dword v117, off, s[52:55], 0 offset:344 ; 4-byte Folded Reload
	;; [unrolled: 1-line block ×4, first 2 shown]
	s_waitcnt lgkmcnt(1)
	v_fma_f64 v[12:13], v[12:13], -0.5, v[4:5]
	v_fma_f64 v[46:47], v[24:25], v[16:17], v[20:21]
	v_fma_f64 v[36:37], v[24:25], v[18:19], -v[22:23]
	v_add_f64 v[18:19], v[4:5], v[82:83]
	v_add_f64 v[20:21], v[84:85], -v[109:110]
	v_add_f64 v[22:23], v[92:93], -v[100:101]
	;; [unrolled: 1-line block ×3, first 2 shown]
	s_waitcnt vmcnt(0)
	v_mul_f64 v[16:17], v[118:119], v[8:9]
	v_mul_f64 v[14:15], v[118:119], v[10:11]
	v_add_f64 v[118:119], v[64:65], v[76:77]
	v_fma_f64 v[38:39], v[116:117], v[10:11], -v[16:17]
	v_add_f64 v[10:11], v[18:19], v[90:91]
	v_add_f64 v[18:19], v[82:83], v[106:107]
	v_fma_f64 v[52:53], v[116:117], v[8:9], v[14:15]
	v_add_f64 v[8:9], v[82:83], -v[90:91]
	v_add_f64 v[14:15], v[106:107], -v[98:99]
	v_fma_f64 v[16:17], v[20:21], s[0:1], v[12:13]
	v_fma_f64 v[12:13], v[20:21], s[2:3], v[12:13]
	v_add_f64 v[116:117], v[109:110], -v[100:101]
	v_add_f64 v[10:11], v[10:11], v[98:99]
	v_fma_f64 v[4:5], v[18:19], -0.5, v[4:5]
	v_add_f64 v[8:9], v[8:9], v[14:15]
	v_add_f64 v[14:15], v[90:91], -v[82:83]
	v_fma_f64 v[16:17], v[22:23], s[4:5], v[16:17]
	v_fma_f64 v[18:19], v[22:23], s[12:13], v[12:13]
	v_add_f64 v[82:83], v[82:83], -v[106:107]
	v_fma_f64 v[12:13], v[22:23], s[2:3], v[4:5]
	v_fma_f64 v[4:5], v[22:23], s[0:1], v[4:5]
	v_add_f64 v[22:23], v[6:7], v[84:85]
	v_add_f64 v[14:15], v[14:15], v[24:25]
	v_fma_f64 v[24:25], v[20:21], s[4:5], v[12:13]
	v_fma_f64 v[30:31], v[20:21], s[12:13], v[4:5]
	v_add_f64 v[4:5], v[22:23], v[92:93]
	v_add_f64 v[12:13], v[92:93], v[100:101]
	;; [unrolled: 1-line block ×3, first 2 shown]
	v_add_f64 v[20:21], v[90:91], -v[98:99]
	v_add_f64 v[98:99], v[84:85], -v[92:93]
	;; [unrolled: 1-line block ×4, first 2 shown]
	v_add_f64 v[90:91], v[4:5], v[100:101]
	v_fma_f64 v[12:13], v[12:13], -0.5, v[6:7]
	v_fma_f64 v[22:23], v[22:23], -0.5, v[6:7]
	v_add_f64 v[4:5], v[10:11], v[106:107]
	v_add_f64 v[100:101], v[94:95], v[102:103]
	;; [unrolled: 1-line block ×4, first 2 shown]
	v_fma_f64 v[10:11], v[82:83], s[2:3], v[12:13]
	v_add_f64 v[90:91], v[98:99], v[116:117]
	v_fma_f64 v[98:99], v[82:83], s[0:1], v[12:13]
	v_fma_f64 v[106:107], v[20:21], s[0:1], v[22:23]
	;; [unrolled: 1-line block ×7, first 2 shown]
	s_waitcnt lgkmcnt(0)
	v_fma_f64 v[92:93], v[100:101], -0.5, v[26:27]
	v_fma_f64 v[18:19], v[20:21], s[4:5], v[98:99]
	v_fma_f64 v[98:99], v[82:83], s[12:13], v[106:107]
	;; [unrolled: 1-line block ×4, first 2 shown]
	v_add_f64 v[24:25], v[86:87], v[111:112]
	v_add_f64 v[100:101], v[88:89], -v[114:115]
	v_fma_f64 v[14:15], v[90:91], s[16:17], v[10:11]
	v_add_f64 v[106:107], v[102:103], -v[111:112]
	v_fma_f64 v[10:11], v[90:91], s[16:17], v[18:19]
	v_fma_f64 v[22:23], v[84:85], s[16:17], v[98:99]
	;; [unrolled: 1-line block ×3, first 2 shown]
	v_add_f64 v[82:83], v[86:87], -v[94:95]
	v_add_f64 v[84:85], v[111:112], -v[102:103]
	;; [unrolled: 1-line block ×3, first 2 shown]
	v_fma_f64 v[24:25], v[24:25], -0.5, v[26:27]
	v_add_f64 v[26:27], v[26:27], v[86:87]
	v_fma_f64 v[30:31], v[100:101], s[0:1], v[92:93]
	v_fma_f64 v[92:93], v[100:101], s[2:3], v[92:93]
	v_add_f64 v[98:99], v[94:95], -v[86:87]
	v_add_f64 v[86:87], v[86:87], -v[111:112]
	v_add_f64 v[109:110], v[82:83], v[84:85]
	v_fma_f64 v[82:83], v[90:91], s[2:3], v[24:25]
	v_fma_f64 v[84:85], v[90:91], s[0:1], v[24:25]
	v_add_f64 v[24:25], v[28:29], v[88:89]
	v_add_f64 v[26:27], v[26:27], v[94:95]
	v_fma_f64 v[30:31], v[90:91], s[4:5], v[30:31]
	v_fma_f64 v[92:93], v[90:91], s[12:13], v[92:93]
	v_add_f64 v[94:95], v[94:95], -v[102:103]
	v_add_f64 v[98:99], v[98:99], v[106:107]
	v_add_f64 v[106:107], v[114:115], -v[104:105]
	v_add_f64 v[24:25], v[24:25], v[96:97]
	v_add_f64 v[26:27], v[26:27], v[102:103]
	;; [unrolled: 1-line block ×7, first 2 shown]
	v_add_f64 v[104:105], v[104:105], -v[114:115]
	v_fma_f64 v[114:115], v[100:101], s[4:5], v[82:83]
	v_fma_f64 v[100:101], v[100:101], s[12:13], v[84:85]
	v_fma_f64 v[90:91], v[90:91], -0.5, v[28:29]
	v_fma_f64 v[28:29], v[102:103], -0.5, v[28:29]
	v_add_f64 v[102:103], v[88:89], -v[96:97]
	v_add_f64 v[88:89], v[96:97], -v[88:89]
	v_fma_f64 v[96:97], v[94:95], s[0:1], v[28:29]
	v_add_f64 v[102:103], v[102:103], v[106:107]
	v_fma_f64 v[106:107], v[86:87], s[2:3], v[90:91]
	v_fma_f64 v[90:91], v[86:87], s[0:1], v[90:91]
	v_fma_f64 v[111:112], v[94:95], s[2:3], v[28:29]
	v_fma_f64 v[28:29], v[109:110], s[16:17], v[30:31]
	v_add_f64 v[104:105], v[88:89], v[104:105]
	v_fma_f64 v[96:97], v[86:87], s[12:13], v[96:97]
	v_fma_f64 v[106:107], v[94:95], s[12:13], v[106:107]
	;; [unrolled: 1-line block ×4, first 2 shown]
	v_add_f64 v[109:110], v[64:65], -v[76:77]
	v_fma_f64 v[96:97], v[104:105], s[16:17], v[96:97]
	v_fma_f64 v[30:31], v[102:103], s[16:17], v[106:107]
	;; [unrolled: 1-line block ×3, first 2 shown]
	v_add_f64 v[111:112], v[70:71], v[74:75]
	ds_read_b128 v[82:85], v108 offset:416
	ds_read_b128 v[86:89], v108 offset:624
	v_fma_f64 v[92:93], v[102:103], s[16:17], v[94:95]
	v_fma_f64 v[94:95], v[98:99], s[16:17], v[114:115]
	;; [unrolled: 1-line block ×3, first 2 shown]
	v_add_f64 v[114:115], v[68:69], -v[72:73]
	s_waitcnt lgkmcnt(1)
	v_fma_f64 v[118:119], v[118:119], -0.5, v[84:85]
	v_fma_f64 v[100:101], v[104:105], s[16:17], v[106:107]
	v_fma_f64 v[102:103], v[111:112], -0.5, v[82:83]
	v_add_f64 v[104:105], v[66:67], -v[70:71]
	v_add_f64 v[106:107], v[78:79], -v[74:75]
	v_add_f64 v[111:112], v[66:67], v[78:79]
	s_waitcnt lgkmcnt(0)
	; wave barrier
	s_waitcnt lgkmcnt(0)
	v_add_f64 v[104:105], v[104:105], v[106:107]
	v_fma_f64 v[106:107], v[109:110], s[0:1], v[102:103]
	v_fma_f64 v[102:103], v[109:110], s[2:3], v[102:103]
	v_fma_f64 v[111:112], v[111:112], -0.5, v[82:83]
	v_add_f64 v[82:83], v[82:83], v[66:67]
	v_fma_f64 v[106:107], v[114:115], s[4:5], v[106:107]
	v_fma_f64 v[102:103], v[114:115], s[12:13], v[102:103]
	;; [unrolled: 1-line block ×4, first 2 shown]
	v_add_f64 v[114:115], v[68:69], v[72:73]
	v_add_f64 v[82:83], v[82:83], v[70:71]
	v_fma_f64 v[116:117], v[109:110], s[4:5], v[116:117]
	v_fma_f64 v[109:110], v[109:110], s[12:13], v[111:112]
	v_fma_f64 v[114:115], v[114:115], -0.5, v[84:85]
	v_add_f64 v[84:85], v[84:85], v[64:65]
	v_add_f64 v[82:83], v[82:83], v[74:75]
	;; [unrolled: 1-line block ×4, first 2 shown]
	v_add_f64 v[78:79], v[66:67], -v[78:79]
	v_add_f64 v[66:67], v[70:71], -v[74:75]
	;; [unrolled: 1-line block ×5, first 2 shown]
	v_add_f64 v[84:85], v[84:85], v[72:73]
	v_add_f64 v[72:73], v[72:73], -v[76:77]
	v_fma_f64 v[64:65], v[78:79], s[2:3], v[114:115]
	v_fma_f64 v[111:112], v[66:67], s[0:1], v[118:119]
	v_add_f64 v[70:71], v[70:71], v[74:75]
	v_fma_f64 v[74:75], v[78:79], s[0:1], v[114:115]
	v_fma_f64 v[114:115], v[66:67], s[2:3], v[118:119]
	v_add_f64 v[84:85], v[84:85], v[76:77]
	v_add_f64 v[118:119], v[44:45], v[60:61]
	v_fma_f64 v[76:77], v[66:67], s[12:13], v[64:65]
	v_fma_f64 v[64:65], v[104:105], s[16:17], v[106:107]
	v_add_f64 v[106:107], v[68:69], v[72:73]
	v_fma_f64 v[111:112], v[78:79], s[12:13], v[111:112]
	v_fma_f64 v[74:75], v[66:67], s[4:5], v[74:75]
	;; [unrolled: 1-line block ×3, first 2 shown]
	v_add_f64 v[114:115], v[54:55], v[58:59]
	v_fma_f64 v[68:69], v[104:105], s[16:17], v[102:103]
	v_fma_f64 v[66:67], v[70:71], s[16:17], v[76:77]
	;; [unrolled: 1-line block ×3, first 2 shown]
	v_add_f64 v[104:105], v[48:49], -v[54:55]
	v_add_f64 v[109:110], v[44:45], -v[60:61]
	v_fma_f64 v[70:71], v[70:71], s[16:17], v[74:75]
	v_fma_f64 v[74:75], v[106:107], s[16:17], v[111:112]
	;; [unrolled: 1-line block ×3, first 2 shown]
	v_fma_f64 v[102:103], v[114:115], -0.5, v[86:87]
	v_add_f64 v[106:107], v[62:63], -v[58:59]
	v_add_f64 v[111:112], v[48:49], v[62:63]
	v_add_f64 v[114:115], v[50:51], -v[56:57]
	v_fma_f64 v[72:73], v[120:121], s[16:17], v[116:117]
	v_fma_f64 v[118:119], v[118:119], -0.5, v[88:89]
	v_add_f64 v[120:121], v[54:55], -v[48:49]
	v_add_f64 v[104:105], v[104:105], v[106:107]
	v_fma_f64 v[106:107], v[109:110], s[0:1], v[102:103]
	v_fma_f64 v[102:103], v[109:110], s[2:3], v[102:103]
	v_fma_f64 v[111:112], v[111:112], -0.5, v[86:87]
	v_add_f64 v[86:87], v[86:87], v[48:49]
	v_add_f64 v[120:121], v[120:121], v[122:123]
	v_add_f64 v[122:123], v[46:47], -v[52:53]
	v_fma_f64 v[106:107], v[114:115], s[4:5], v[106:107]
	v_fma_f64 v[102:103], v[114:115], s[12:13], v[102:103]
	;; [unrolled: 1-line block ×4, first 2 shown]
	v_add_f64 v[114:115], v[50:51], v[56:57]
	v_add_f64 v[86:87], v[86:87], v[54:55]
	v_fma_f64 v[116:117], v[109:110], s[4:5], v[116:117]
	v_fma_f64 v[109:110], v[109:110], s[12:13], v[111:112]
	v_fma_f64 v[114:115], v[114:115], -0.5, v[88:89]
	v_add_f64 v[88:89], v[88:89], v[44:45]
	v_add_f64 v[86:87], v[86:87], v[58:59]
	;; [unrolled: 1-line block ×4, first 2 shown]
	v_add_f64 v[62:63], v[48:49], -v[62:63]
	v_add_f64 v[48:49], v[54:55], -v[58:59]
	;; [unrolled: 1-line block ×5, first 2 shown]
	v_add_f64 v[88:89], v[88:89], v[56:57]
	v_fma_f64 v[50:51], v[62:63], s[2:3], v[114:115]
	v_fma_f64 v[111:112], v[48:49], s[2:3], v[118:119]
	v_add_f64 v[58:59], v[54:55], v[58:59]
	v_add_f64 v[54:55], v[56:57], -v[60:61]
	v_fma_f64 v[56:57], v[62:63], s[0:1], v[114:115]
	v_add_f64 v[88:89], v[88:89], v[60:61]
	v_fma_f64 v[60:61], v[48:49], s[0:1], v[118:119]
	v_fma_f64 v[50:51], v[48:49], s[12:13], v[50:51]
	v_add_f64 v[114:115], v[34:35], -v[36:37]
	v_add_f64 v[118:119], v[32:33], v[38:39]
	v_add_f64 v[44:45], v[44:45], v[54:55]
	v_fma_f64 v[56:57], v[48:49], s[4:5], v[56:57]
	v_fma_f64 v[48:49], v[104:105], s[16:17], v[106:107]
	v_fma_f64 v[60:61], v[62:63], s[12:13], v[60:61]
	v_fma_f64 v[62:63], v[62:63], s[4:5], v[111:112]
	v_add_f64 v[106:107], v[42:43], v[46:47]
	v_fma_f64 v[54:55], v[104:105], s[16:17], v[102:103]
	v_fma_f64 v[102:103], v[120:121], s[16:17], v[109:110]
	v_add_f64 v[109:110], v[32:33], -v[38:39]
	v_add_f64 v[111:112], v[40:41], v[52:53]
	v_fma_f64 v[50:51], v[58:59], s[16:17], v[50:51]
	v_fma_f64 v[60:61], v[44:45], s[16:17], v[60:61]
	;; [unrolled: 1-line block ×3, first 2 shown]
	v_fma_f64 v[44:45], v[106:107], -0.5, v[0:1]
	v_add_f64 v[62:63], v[40:41], -v[42:43]
	v_add_f64 v[106:107], v[52:53], -v[46:47]
	v_fma_f64 v[56:57], v[58:59], s[16:17], v[56:57]
	v_fma_f64 v[111:112], v[111:112], -0.5, v[0:1]
	v_fma_f64 v[58:59], v[120:121], s[16:17], v[116:117]
	v_add_f64 v[0:1], v[0:1], v[40:41]
	v_fma_f64 v[118:119], v[118:119], -0.5, v[2:3]
	v_add_f64 v[120:121], v[42:43], -v[40:41]
	v_add_f64 v[40:41], v[40:41], -v[52:53]
	v_add_f64 v[62:63], v[62:63], v[106:107]
	v_fma_f64 v[106:107], v[109:110], s[0:1], v[44:45]
	v_fma_f64 v[44:45], v[109:110], s[2:3], v[44:45]
	;; [unrolled: 1-line block ×4, first 2 shown]
	v_add_f64 v[0:1], v[0:1], v[42:43]
	v_add_f64 v[42:43], v[42:43], -v[46:47]
	v_add_f64 v[120:121], v[120:121], v[122:123]
	v_fma_f64 v[106:107], v[114:115], s[4:5], v[106:107]
	v_fma_f64 v[44:45], v[114:115], s[12:13], v[44:45]
	v_add_f64 v[114:115], v[34:35], v[36:37]
	v_fma_f64 v[116:117], v[109:110], s[4:5], v[116:117]
	v_add_f64 v[0:1], v[0:1], v[46:47]
	v_add_f64 v[46:47], v[32:33], -v[34:35]
	v_fma_f64 v[109:110], v[109:110], s[12:13], v[111:112]
	v_fma_f64 v[111:112], v[42:43], s[2:3], v[118:119]
	v_fma_f64 v[114:115], v[114:115], -0.5, v[2:3]
	v_add_f64 v[2:3], v[2:3], v[32:33]
	v_add_f64 v[0:1], v[0:1], v[52:53]
	v_add_f64 v[52:53], v[38:39], -v[36:37]
	v_add_f64 v[32:33], v[34:35], -v[32:33]
	v_add_f64 v[2:3], v[2:3], v[34:35]
	v_add_f64 v[34:35], v[36:37], -v[38:39]
	v_add_f64 v[46:47], v[46:47], v[52:53]
	v_fma_f64 v[52:53], v[42:43], s[0:1], v[118:119]
	v_add_f64 v[2:3], v[2:3], v[36:37]
	v_fma_f64 v[36:37], v[40:41], s[2:3], v[114:115]
	;; [unrolled: 2-line block ×4, first 2 shown]
	v_fma_f64 v[114:115], v[42:43], s[12:13], v[36:37]
	v_fma_f64 v[36:37], v[62:63], s[16:17], v[44:45]
	;; [unrolled: 1-line block ×11, first 2 shown]
	ds_write_b128 v108, v[4:7]
	ds_write_b128 v108, v[12:15] offset:208
	ds_write_b128 v108, v[20:23] offset:416
	ds_write_b128 v108, v[16:19] offset:624
	ds_write_b128 v108, v[8:11] offset:832
	ds_write_b128 v108, v[24:27] offset:1040
	ds_write_b128 v108, v[28:31] offset:1248
	ds_write_b128 v108, v[94:97] offset:1456
	ds_write_b128 v108, v[98:101] offset:1664
	ds_write_b128 v108, v[90:93] offset:1872
	ds_write_b128 v136, v[82:85] offset:2080
	ds_write_b128 v136, v[64:67] offset:2288
	ds_write_b128 v136, v[72:75] offset:2496
	ds_write_b128 v136, v[76:79] offset:2704
	ds_write_b128 v136, v[68:71] offset:2912
	ds_write_b128 v137, v[86:89] offset:3120
	ds_write_b128 v137, v[48:51] offset:3328
	ds_write_b128 v137, v[58:61] offset:3536
	ds_write_b128 v137, v[102:105] offset:3744
	ds_write_b128 v137, v[54:57] offset:3952
	ds_write_b128 v113, v[0:3] offset:4160
	ds_write_b128 v113, v[32:35] offset:4368
	ds_write_b128 v113, v[40:43] offset:4576
	ds_write_b128 v113, v[44:47] offset:4784
	ds_write_b128 v113, v[36:39] offset:4992
	s_waitcnt lgkmcnt(0)
	; wave barrier
	s_waitcnt lgkmcnt(0)
	ds_read_b128 v[12:15], v108 offset:1040
	ds_read_b128 v[20:23], v108
	ds_read_b128 v[16:19], v108 offset:208
	ds_read_b128 v[24:27], v108 offset:2080
	;; [unrolled: 1-line block ×18, first 2 shown]
	s_waitcnt lgkmcnt(14)
	v_mul_f64 v[102:103], v[140:141], v[14:15]
	v_mul_f64 v[104:105], v[140:141], v[12:13]
	;; [unrolled: 1-line block ×4, first 2 shown]
	ds_read_b128 v[82:85], v108 offset:3120
	ds_read_b128 v[86:89], v108 offset:2912
	;; [unrolled: 1-line block ×5, first 2 shown]
	v_fma_f64 v[12:13], v[138:139], v[12:13], v[102:103]
	v_fma_f64 v[14:15], v[138:139], v[14:15], -v[104:105]
	v_fma_f64 v[24:25], v[132:133], v[24:25], v[106:107]
	s_waitcnt lgkmcnt(4)
	v_mul_f64 v[102:103], v[130:131], v[84:85]
	v_fma_f64 v[26:27], v[132:133], v[26:27], -v[109:110]
	v_mul_f64 v[104:105], v[130:131], v[82:83]
	buffer_load_dword v130, off, s[52:55], 0 offset:436 ; 4-byte Folded Reload
	buffer_load_dword v131, off, s[52:55], 0 offset:440 ; 4-byte Folded Reload
	;; [unrolled: 1-line block ×8, first 2 shown]
	v_mul_f64 v[109:110], v[126:127], v[32:33]
	v_mul_f64 v[106:107], v[126:127], v[34:35]
	v_fma_f64 v[82:83], v[128:129], v[82:83], v[102:103]
	v_fma_f64 v[84:85], v[128:129], v[84:85], -v[104:105]
	v_fma_f64 v[34:35], v[124:125], v[34:35], -v[109:110]
	v_fma_f64 v[32:33], v[124:125], v[32:33], v[106:107]
	s_waitcnt vmcnt(4)
	v_mul_f64 v[111:112], v[132:133], v[42:43]
	s_waitcnt vmcnt(0)
	v_mul_f64 v[115:116], v[119:120], v[30:31]
	v_mul_f64 v[102:103], v[119:120], v[28:29]
	v_mul_f64 v[113:114], v[132:133], v[40:41]
	v_fma_f64 v[104:105], v[130:131], v[40:41], v[111:112]
	v_fma_f64 v[109:110], v[117:118], v[28:29], v[115:116]
	v_mul_f64 v[28:29], v[148:149], v[50:51]
	v_fma_f64 v[102:103], v[117:118], v[30:31], -v[102:103]
	v_mul_f64 v[30:31], v[148:149], v[48:49]
	v_fma_f64 v[106:107], v[130:131], v[42:43], -v[113:114]
	v_mul_f64 v[40:41], v[144:145], v[38:39]
	v_mul_f64 v[42:43], v[144:145], v[36:37]
	;; [unrolled: 1-line block ×4, first 2 shown]
	v_fma_f64 v[117:118], v[146:147], v[48:49], v[28:29]
	v_mul_f64 v[28:29], v[160:161], v[56:57]
	v_fma_f64 v[119:120], v[146:147], v[50:51], -v[30:31]
	v_mul_f64 v[30:31], v[156:157], v[54:55]
	v_mul_f64 v[115:116], v[160:161], v[58:59]
	v_fma_f64 v[121:122], v[142:143], v[36:37], v[40:41]
	v_fma_f64 v[123:124], v[142:143], v[38:39], -v[42:43]
	v_fma_f64 v[111:112], v[162:163], v[44:45], v[111:112]
	v_mul_f64 v[36:37], v[152:153], v[66:67]
	v_fma_f64 v[125:126], v[158:159], v[58:59], -v[28:29]
	v_mul_f64 v[28:29], v[156:157], v[52:53]
	v_mul_f64 v[38:39], v[152:153], v[64:65]
	v_mul_f64 v[42:43], v[180:181], v[72:73]
	v_mul_f64 v[44:45], v[176:177], v[62:63]
	v_fma_f64 v[127:128], v[154:155], v[52:53], v[30:31]
	v_mul_f64 v[30:31], v[176:177], v[60:61]
	v_fma_f64 v[115:116], v[158:159], v[56:57], v[115:116]
	v_fma_f64 v[131:132], v[150:151], v[64:65], v[36:37]
	v_fma_f64 v[129:130], v[154:155], v[54:55], -v[28:29]
	s_waitcnt lgkmcnt(2)
	v_mul_f64 v[28:29], v[172:173], v[92:93]
	v_fma_f64 v[133:134], v[150:151], v[66:67], -v[38:39]
	v_fma_f64 v[52:53], v[178:179], v[74:75], -v[42:43]
	v_fma_f64 v[137:138], v[174:175], v[60:61], v[44:45]
	v_fma_f64 v[54:55], v[174:175], v[62:63], -v[30:31]
	v_mul_f64 v[30:31], v[172:173], v[90:91]
	v_mul_f64 v[36:37], v[168:169], v[70:71]
	;; [unrolled: 1-line block ×3, first 2 shown]
	v_fma_f64 v[139:140], v[170:171], v[90:91], v[28:29]
	v_add_f64 v[28:29], v[24:25], v[82:83]
	v_mul_f64 v[42:43], v[196:197], v[76:77]
	v_mul_f64 v[44:45], v[192:193], v[88:89]
	v_add_f64 v[56:57], v[14:15], -v[34:35]
	v_add_f64 v[62:63], v[12:13], v[32:33]
	v_mul_f64 v[40:41], v[180:181], v[74:75]
	v_fma_f64 v[92:93], v[170:171], v[92:93], -v[30:31]
	v_fma_f64 v[90:91], v[166:167], v[68:69], v[36:37]
	v_fma_f64 v[28:29], v[28:29], -0.5, v[20:21]
	v_fma_f64 v[141:142], v[166:167], v[70:71], -v[38:39]
	v_fma_f64 v[36:37], v[194:195], v[78:79], -v[42:43]
	v_fma_f64 v[38:39], v[190:191], v[86:87], v[44:45]
	v_add_f64 v[30:31], v[20:21], v[12:13]
	v_mul_f64 v[42:43], v[192:193], v[86:87]
	s_waitcnt lgkmcnt(1)
	v_mul_f64 v[44:45], v[188:189], v[96:97]
	v_mul_f64 v[50:51], v[188:189], v[94:95]
	s_waitcnt lgkmcnt(0)
	v_mul_f64 v[58:59], v[184:185], v[100:101]
	v_mul_f64 v[60:61], v[184:185], v[98:99]
	v_fma_f64 v[64:65], v[56:57], s[0:1], v[28:29]
	v_add_f64 v[66:67], v[26:27], -v[84:85]
	v_fma_f64 v[20:21], v[62:63], -0.5, v[20:21]
	v_fma_f64 v[113:114], v[162:163], v[46:47], -v[113:114]
	v_fma_f64 v[135:136], v[178:179], v[72:73], v[40:41]
	v_mul_f64 v[40:41], v[196:197], v[78:79]
	v_fma_f64 v[46:47], v[190:191], v[88:89], -v[42:43]
	v_fma_f64 v[48:49], v[186:187], v[94:95], v[44:45]
	v_fma_f64 v[44:45], v[186:187], v[96:97], -v[50:51]
	v_fma_f64 v[50:51], v[182:183], v[98:99], v[58:59]
	;; [unrolled: 2-line block ×3, first 2 shown]
	v_add_f64 v[60:61], v[12:13], -v[24:25]
	v_add_f64 v[64:65], v[32:33], -v[82:83]
	v_fma_f64 v[68:69], v[66:67], s[2:3], v[20:21]
	v_fma_f64 v[20:21], v[66:67], s[0:1], v[20:21]
	;; [unrolled: 1-line block ×3, first 2 shown]
	v_add_f64 v[62:63], v[26:27], v[84:85]
	v_fma_f64 v[28:29], v[56:57], s[2:3], v[28:29]
	v_add_f64 v[70:71], v[24:25], -v[12:13]
	v_add_f64 v[72:73], v[82:83], -v[32:33]
	;; [unrolled: 1-line block ×3, first 2 shown]
	v_add_f64 v[12:13], v[60:61], v[64:65]
	v_fma_f64 v[64:65], v[56:57], s[4:5], v[68:69]
	v_fma_f64 v[20:21], v[56:57], s[12:13], v[20:21]
	v_add_f64 v[56:57], v[14:15], v[34:35]
	v_add_f64 v[30:31], v[30:31], v[24:25]
	;; [unrolled: 1-line block ×3, first 2 shown]
	v_fma_f64 v[62:63], v[62:63], -0.5, v[22:23]
	v_fma_f64 v[60:61], v[66:67], s[12:13], v[28:29]
	v_add_f64 v[66:67], v[70:71], v[72:73]
	v_add_f64 v[72:73], v[24:25], -v[82:83]
	v_fma_f64 v[28:29], v[12:13], s[16:17], v[58:59]
	v_fma_f64 v[22:23], v[56:57], -0.5, v[22:23]
	v_add_f64 v[30:31], v[30:31], v[82:83]
	v_add_f64 v[68:69], v[74:75], v[26:27]
	v_fma_f64 v[70:71], v[76:77], s[2:3], v[62:63]
	v_fma_f64 v[12:13], v[12:13], s[16:17], v[60:61]
	;; [unrolled: 1-line block ×4, first 2 shown]
	v_add_f64 v[58:59], v[14:15], -v[26:27]
	v_add_f64 v[60:61], v[109:110], v[117:118]
	v_add_f64 v[64:65], v[34:35], -v[84:85]
	v_fma_f64 v[62:63], v[76:77], s[0:1], v[62:63]
	v_fma_f64 v[66:67], v[72:73], s[0:1], v[22:23]
	v_add_f64 v[14:15], v[26:27], -v[14:15]
	v_add_f64 v[26:27], v[84:85], -v[34:35]
	v_add_f64 v[32:33], v[30:31], v[32:33]
	v_add_f64 v[30:31], v[68:69], v[84:85]
	v_fma_f64 v[56:57], v[72:73], s[12:13], v[70:71]
	v_fma_f64 v[22:23], v[72:73], s[2:3], v[22:23]
	v_add_f64 v[68:69], v[16:17], v[104:105]
	v_fma_f64 v[60:61], v[60:61], -0.5, v[16:17]
	v_add_f64 v[70:71], v[106:107], -v[123:124]
	v_add_f64 v[58:59], v[58:59], v[64:65]
	v_fma_f64 v[62:63], v[72:73], s[4:5], v[62:63]
	v_fma_f64 v[64:65], v[76:77], s[12:13], v[66:67]
	v_add_f64 v[66:67], v[14:15], v[26:27]
	v_add_f64 v[72:73], v[104:105], v[121:122]
	v_fma_f64 v[22:23], v[76:77], s[4:5], v[22:23]
	v_add_f64 v[68:69], v[68:69], v[109:110]
	v_fma_f64 v[74:75], v[70:71], s[0:1], v[60:61]
	v_add_f64 v[76:77], v[102:103], -v[119:120]
	v_add_f64 v[34:35], v[30:31], v[34:35]
	v_fma_f64 v[30:31], v[58:59], s[16:17], v[56:57]
	v_fma_f64 v[26:27], v[66:67], s[16:17], v[64:65]
	v_fma_f64 v[16:17], v[72:73], -0.5, v[16:17]
	v_add_f64 v[64:65], v[102:103], v[119:120]
	v_fma_f64 v[14:15], v[58:59], s[16:17], v[62:63]
	v_fma_f64 v[22:23], v[66:67], s[16:17], v[22:23]
	v_add_f64 v[56:57], v[68:69], v[117:118]
	v_fma_f64 v[58:59], v[76:77], s[4:5], v[74:75]
	v_add_f64 v[62:63], v[104:105], -v[109:110]
	v_add_f64 v[66:67], v[121:122], -v[117:118]
	v_fma_f64 v[60:61], v[70:71], s[2:3], v[60:61]
	v_fma_f64 v[68:69], v[76:77], s[2:3], v[16:17]
	v_add_f64 v[72:73], v[109:110], -v[104:105]
	v_add_f64 v[74:75], v[117:118], -v[121:122]
	v_fma_f64 v[16:17], v[76:77], s[0:1], v[16:17]
	v_fma_f64 v[82:83], v[64:65], -0.5, v[18:19]
	v_add_f64 v[84:85], v[104:105], -v[121:122]
	v_add_f64 v[78:79], v[18:19], v[106:107]
	v_add_f64 v[62:63], v[62:63], v[66:67]
	v_fma_f64 v[60:61], v[76:77], s[12:13], v[60:61]
	v_fma_f64 v[64:65], v[70:71], s[4:5], v[68:69]
	v_add_f64 v[66:67], v[72:73], v[74:75]
	v_fma_f64 v[68:69], v[70:71], s[12:13], v[16:17]
	v_add_f64 v[70:71], v[106:107], v[123:124]
	v_fma_f64 v[74:75], v[84:85], s[2:3], v[82:83]
	v_add_f64 v[76:77], v[109:110], -v[117:118]
	v_add_f64 v[72:73], v[78:79], v[102:103]
	v_add_f64 v[16:17], v[56:57], v[121:122]
	v_fma_f64 v[56:57], v[62:63], s[16:17], v[58:59]
	v_fma_f64 v[60:61], v[62:63], s[16:17], v[60:61]
	v_add_f64 v[86:87], v[119:120], -v[123:124]
	v_fma_f64 v[18:19], v[70:71], -0.5, v[18:19]
	v_add_f64 v[70:71], v[115:116], v[127:128]
	v_fma_f64 v[62:63], v[76:77], s[12:13], v[74:75]
	v_fma_f64 v[74:75], v[84:85], s[0:1], v[82:83]
	v_add_f64 v[82:83], v[102:103], -v[106:107]
	v_fma_f64 v[64:65], v[66:67], s[16:17], v[64:65]
	v_fma_f64 v[68:69], v[66:67], s[16:17], v[68:69]
	v_add_f64 v[58:59], v[72:73], v[119:120]
	v_add_f64 v[66:67], v[106:107], -v[102:103]
	v_add_f64 v[72:73], v[123:124], -v[119:120]
	v_fma_f64 v[78:79], v[76:77], s[0:1], v[18:19]
	v_fma_f64 v[18:19], v[76:77], s[2:3], v[18:19]
	v_add_f64 v[88:89], v[8:9], v[111:112]
	v_fma_f64 v[94:95], v[70:71], -0.5, v[8:9]
	v_add_f64 v[96:97], v[113:114], -v[133:134]
	v_fma_f64 v[70:71], v[76:77], s[4:5], v[74:75]
	v_add_f64 v[74:75], v[82:83], v[86:87]
	v_add_f64 v[82:83], v[111:112], v[131:132]
	;; [unrolled: 1-line block ×3, first 2 shown]
	v_fma_f64 v[72:73], v[84:85], s[12:13], v[78:79]
	v_fma_f64 v[76:77], v[84:85], s[4:5], v[18:19]
	v_add_f64 v[78:79], v[88:89], v[115:116]
	v_fma_f64 v[84:85], v[96:97], s[0:1], v[94:95]
	v_add_f64 v[86:87], v[125:126], -v[129:130]
	v_add_f64 v[18:19], v[58:59], v[123:124]
	v_fma_f64 v[8:9], v[82:83], -0.5, v[8:9]
	v_fma_f64 v[58:59], v[66:67], s[16:17], v[62:63]
	v_fma_f64 v[62:63], v[66:67], s[16:17], v[70:71]
	;; [unrolled: 1-line block ×4, first 2 shown]
	v_add_f64 v[72:73], v[78:79], v[127:128]
	v_fma_f64 v[74:75], v[86:87], s[4:5], v[84:85]
	v_add_f64 v[76:77], v[111:112], -v[115:116]
	v_add_f64 v[78:79], v[10:11], v[113:114]
	v_add_f64 v[82:83], v[125:126], v[129:130]
	v_add_f64 v[84:85], v[131:132], -v[127:128]
	v_fma_f64 v[88:89], v[96:97], s[2:3], v[94:95]
	v_fma_f64 v[94:95], v[86:87], s[2:3], v[8:9]
	v_add_f64 v[98:99], v[115:116], -v[111:112]
	v_add_f64 v[100:101], v[127:128], -v[131:132]
	v_fma_f64 v[8:9], v[86:87], s[0:1], v[8:9]
	v_add_f64 v[78:79], v[78:79], v[125:126]
	v_fma_f64 v[102:103], v[82:83], -0.5, v[10:11]
	v_add_f64 v[104:105], v[111:112], -v[131:132]
	v_add_f64 v[76:77], v[76:77], v[84:85]
	v_fma_f64 v[84:85], v[96:97], s[4:5], v[94:95]
	v_add_f64 v[94:95], v[113:114], v[133:134]
	v_fma_f64 v[82:83], v[86:87], s[12:13], v[88:89]
	;; [unrolled: 2-line block ×4, first 2 shown]
	v_add_f64 v[98:99], v[115:116], -v[127:128]
	v_add_f64 v[8:9], v[72:73], v[131:132]
	v_fma_f64 v[72:73], v[76:77], s[16:17], v[74:75]
	v_fma_f64 v[74:75], v[94:95], -0.5, v[10:11]
	v_fma_f64 v[76:77], v[76:77], s[16:17], v[82:83]
	v_fma_f64 v[82:83], v[86:87], s[16:17], v[84:85]
	;; [unrolled: 1-line block ×3, first 2 shown]
	v_add_f64 v[10:11], v[78:79], v[133:134]
	v_fma_f64 v[78:79], v[98:99], s[12:13], v[96:97]
	v_add_f64 v[84:85], v[113:114], -v[125:126]
	v_add_f64 v[88:89], v[133:134], -v[129:130]
	v_add_f64 v[94:95], v[4:5], v[135:136]
	v_fma_f64 v[96:97], v[104:105], s[0:1], v[102:103]
	v_add_f64 v[100:101], v[137:138], v[139:140]
	v_fma_f64 v[102:103], v[98:99], s[0:1], v[74:75]
	v_add_f64 v[106:107], v[125:126], -v[113:114]
	v_add_f64 v[109:110], v[129:130], -v[133:134]
	v_fma_f64 v[74:75], v[98:99], s[2:3], v[74:75]
	v_add_f64 v[84:85], v[84:85], v[88:89]
	v_add_f64 v[88:89], v[94:95], v[137:138]
	v_fma_f64 v[94:95], v[98:99], s[4:5], v[96:97]
	v_fma_f64 v[96:97], v[100:101], -0.5, v[4:5]
	v_add_f64 v[98:99], v[52:53], -v[141:142]
	v_fma_f64 v[100:101], v[104:105], s[12:13], v[102:103]
	v_add_f64 v[102:103], v[106:107], v[109:110]
	v_fma_f64 v[104:105], v[104:105], s[4:5], v[74:75]
	v_add_f64 v[106:107], v[135:136], v[90:91]
	v_add_f64 v[109:110], v[88:89], v[139:140]
	v_fma_f64 v[74:75], v[84:85], s[16:17], v[78:79]
	v_fma_f64 v[78:79], v[84:85], s[16:17], v[94:95]
	;; [unrolled: 1-line block ×3, first 2 shown]
	v_add_f64 v[111:112], v[54:55], -v[92:93]
	v_fma_f64 v[84:85], v[102:103], s[16:17], v[100:101]
	v_fma_f64 v[88:89], v[102:103], s[16:17], v[104:105]
	v_fma_f64 v[100:101], v[106:107], -0.5, v[4:5]
	v_add_f64 v[102:103], v[135:136], -v[137:138]
	v_add_f64 v[104:105], v[90:91], -v[139:140]
	v_fma_f64 v[96:97], v[98:99], s[2:3], v[96:97]
	v_add_f64 v[106:107], v[6:7], v[52:53]
	v_add_f64 v[4:5], v[109:110], v[90:91]
	v_fma_f64 v[94:95], v[111:112], s[4:5], v[94:95]
	v_add_f64 v[109:110], v[54:55], v[92:93]
	v_fma_f64 v[113:114], v[111:112], s[2:3], v[100:101]
	v_add_f64 v[115:116], v[137:138], -v[135:136]
	v_add_f64 v[117:118], v[139:140], -v[90:91]
	v_add_f64 v[102:103], v[102:103], v[104:105]
	v_fma_f64 v[96:97], v[111:112], s[12:13], v[96:97]
	v_fma_f64 v[100:101], v[111:112], s[0:1], v[100:101]
	v_add_f64 v[104:105], v[106:107], v[54:55]
	v_fma_f64 v[106:107], v[109:110], -0.5, v[6:7]
	v_add_f64 v[109:110], v[135:136], -v[90:91]
	v_fma_f64 v[111:112], v[98:99], s[4:5], v[113:114]
	v_add_f64 v[113:114], v[115:116], v[117:118]
	v_fma_f64 v[90:91], v[102:103], s[16:17], v[94:95]
	v_fma_f64 v[94:95], v[102:103], s[16:17], v[96:97]
	;; [unrolled: 1-line block ×3, first 2 shown]
	v_add_f64 v[100:101], v[104:105], v[92:93]
	v_add_f64 v[104:105], v[52:53], v[141:142]
	v_add_f64 v[117:118], v[137:138], -v[139:140]
	v_fma_f64 v[115:116], v[109:110], s[2:3], v[106:107]
	v_fma_f64 v[98:99], v[113:114], s[16:17], v[111:112]
	v_add_f64 v[111:112], v[38:39], v[48:49]
	v_add_f64 v[119:120], v[52:53], -v[54:55]
	v_fma_f64 v[102:103], v[113:114], s[16:17], v[96:97]
	v_add_f64 v[121:122], v[141:142], -v[92:93]
	v_fma_f64 v[96:97], v[104:105], -0.5, v[6:7]
	v_add_f64 v[104:105], v[0:1], v[40:41]
	v_add_f64 v[113:114], v[36:37], -v[42:43]
	v_fma_f64 v[106:107], v[109:110], s[0:1], v[106:107]
	v_fma_f64 v[111:112], v[111:112], -0.5, v[0:1]
	v_add_f64 v[52:53], v[54:55], -v[52:53]
	v_add_f64 v[54:55], v[92:93], -v[141:142]
	v_add_f64 v[6:7], v[100:101], v[141:142]
	v_fma_f64 v[92:93], v[117:118], s[2:3], v[96:97]
	v_fma_f64 v[100:101], v[117:118], s[12:13], v[115:116]
	v_add_f64 v[115:116], v[119:120], v[121:122]
	v_fma_f64 v[119:120], v[117:118], s[0:1], v[96:97]
	v_add_f64 v[96:97], v[104:105], v[38:39]
	v_fma_f64 v[104:105], v[113:114], s[0:1], v[111:112]
	v_add_f64 v[121:122], v[46:47], -v[44:45]
	v_fma_f64 v[106:107], v[117:118], s[4:5], v[106:107]
	v_add_f64 v[117:118], v[40:41], v[50:51]
	v_add_f64 v[52:53], v[52:53], v[54:55]
	v_fma_f64 v[54:55], v[109:110], s[4:5], v[92:93]
	v_add_f64 v[123:124], v[40:41], -v[38:39]
	v_add_f64 v[125:126], v[50:51], -v[48:49]
	v_fma_f64 v[119:120], v[109:110], s[12:13], v[119:120]
	v_add_f64 v[109:110], v[96:97], v[48:49]
	v_fma_f64 v[127:128], v[121:122], s[4:5], v[104:105]
	v_fma_f64 v[92:93], v[115:116], s[16:17], v[100:101]
	v_fma_f64 v[117:118], v[117:118], -0.5, v[0:1]
	v_fma_f64 v[96:97], v[115:116], s[16:17], v[106:107]
	v_fma_f64 v[104:105], v[52:53], s[16:17], v[54:55]
	v_add_f64 v[54:55], v[46:47], v[44:45]
	v_add_f64 v[115:116], v[36:37], v[42:43]
	;; [unrolled: 1-line block ×3, first 2 shown]
	v_fma_f64 v[100:101], v[52:53], s[16:17], v[119:120]
	v_fma_f64 v[106:107], v[113:114], s[2:3], v[111:112]
	v_add_f64 v[111:112], v[38:39], -v[40:41]
	v_add_f64 v[119:120], v[48:49], -v[50:51]
	v_add_f64 v[125:126], v[2:3], v[36:37]
	v_add_f64 v[0:1], v[109:110], v[50:51]
	v_fma_f64 v[109:110], v[121:122], s[2:3], v[117:118]
	v_fma_f64 v[54:55], v[54:55], -0.5, v[2:3]
	v_add_f64 v[40:41], v[40:41], -v[50:51]
	v_add_f64 v[38:39], v[38:39], -v[48:49]
	v_fma_f64 v[2:3], v[115:116], -0.5, v[2:3]
	v_add_f64 v[48:49], v[111:112], v[119:120]
	v_add_f64 v[111:112], v[125:126], v[46:47]
	v_fma_f64 v[50:51], v[121:122], s[12:13], v[106:107]
	v_fma_f64 v[106:107], v[113:114], s[4:5], v[109:110]
	;; [unrolled: 1-line block ×4, first 2 shown]
	v_add_f64 v[117:118], v[36:37], -v[46:47]
	v_add_f64 v[119:120], v[42:43], -v[44:45]
	v_fma_f64 v[54:55], v[40:41], s[0:1], v[54:55]
	v_fma_f64 v[121:122], v[38:39], s[0:1], v[2:3]
	v_add_f64 v[36:37], v[46:47], -v[36:37]
	v_add_f64 v[46:47], v[44:45], -v[42:43]
	v_fma_f64 v[2:3], v[38:39], s[2:3], v[2:3]
	v_add_f64 v[111:112], v[111:112], v[44:45]
	v_fma_f64 v[109:110], v[113:114], s[12:13], v[109:110]
	v_fma_f64 v[113:114], v[38:39], s[12:13], v[115:116]
	v_add_f64 v[115:116], v[117:118], v[119:120]
	v_fma_f64 v[38:39], v[38:39], s[4:5], v[54:55]
	v_fma_f64 v[117:118], v[40:41], s[12:13], v[121:122]
	v_add_f64 v[46:47], v[36:37], v[46:47]
	v_fma_f64 v[119:120], v[40:41], s[4:5], v[2:3]
	v_add_f64 v[2:3], v[111:112], v[42:43]
	v_fma_f64 v[52:53], v[123:124], s[16:17], v[127:128]
	v_fma_f64 v[36:37], v[123:124], s[16:17], v[50:51]
	;; [unrolled: 1-line block ×8, first 2 shown]
	ds_write_b128 v108, v[32:35]
	ds_write_b128 v80, v[28:31] offset:1040
	ds_write_b128 v80, v[24:27] offset:2080
	;; [unrolled: 1-line block ×24, first 2 shown]
	s_waitcnt lgkmcnt(0)
	; wave barrier
	s_waitcnt lgkmcnt(0)
	ds_read_b128 v[0:3], v108
	buffer_load_dword v4, off, s[52:55], 0 offset:28 ; 4-byte Folded Reload
	buffer_load_dword v5, off, s[52:55], 0 offset:32 ; 4-byte Folded Reload
	s_mov_b32 s2, 0x7f9b2ce6
	s_mov_b32 s3, 0x3f6934c6
	s_waitcnt vmcnt(1)
	v_mov_b32_e32 v14, v4
	s_waitcnt vmcnt(0)
	ds_read_b128 v[4:7], v108 offset:400
	buffer_load_dword v16, off, s[52:55], 0 offset:228 ; 4-byte Folded Reload
	buffer_load_dword v17, off, s[52:55], 0 offset:232 ; 4-byte Folded Reload
	;; [unrolled: 1-line block ×4, first 2 shown]
	buffer_load_dword v29, off, s[52:55], 0 ; 4-byte Folded Reload
	v_mad_u64_u32 v[12:13], s[0:1], s10, v14, 0
	v_mad_u64_u32 v[13:14], s[0:1], s11, v14, v[13:14]
	s_waitcnt vmcnt(1) lgkmcnt(1)
	v_mul_f64 v[8:9], v[18:19], v[2:3]
	v_mul_f64 v[10:11], v[18:19], v[0:1]
	buffer_load_dword v18, off, s[52:55], 0 offset:196 ; 4-byte Folded Reload
	buffer_load_dword v19, off, s[52:55], 0 offset:200 ; 4-byte Folded Reload
	;; [unrolled: 1-line block ×4, first 2 shown]
	s_waitcnt vmcnt(4)
	v_mad_u64_u32 v[14:15], s[0:1], s8, v29, 0
	v_fma_f64 v[0:1], v[16:17], v[0:1], v[8:9]
	v_mov_b32_e32 v8, v15
	v_fma_f64 v[2:3], v[16:17], v[2:3], -v[10:11]
	v_mad_u64_u32 v[15:16], s[0:1], s9, v29, v[8:9]
	v_mul_f64 v[8:9], v[0:1], s[2:3]
	v_lshlrev_b64 v[0:1], 4, v[12:13]
	v_mul_f64 v[10:11], v[2:3], s[2:3]
	v_mov_b32_e32 v3, s15
	v_add_co_u32_e64 v2, s[0:1], s14, v0
	v_addc_co_u32_e64 v3, s[0:1], v3, v1, s[0:1]
	v_lshlrev_b64 v[0:1], 4, v[14:15]
	v_add_co_u32_e64 v0, s[0:1], v2, v0
	v_addc_co_u32_e64 v1, s[0:1], v3, v1, s[0:1]
	global_store_dwordx4 v[0:1], v[8:11], off
	s_mul_i32 s0, s9, 25
	s_mul_hi_u32 s1, s8, 25
	s_add_i32 s1, s1, s0
	s_mul_i32 s0, s8, 25
	s_lshl_b64 s[4:5], s[0:1], 4
	v_mov_b32_e32 v28, s5
	v_add_co_u32_e64 v0, s[0:1], s4, v0
	v_addc_co_u32_e64 v1, s[0:1], v1, v28, s[0:1]
	s_waitcnt vmcnt(1) lgkmcnt(0)
	v_mul_f64 v[12:13], v[20:21], v[6:7]
	v_mul_f64 v[16:17], v[20:21], v[4:5]
	v_fma_f64 v[12:13], v[18:19], v[4:5], v[12:13]
	v_fma_f64 v[14:15], v[18:19], v[6:7], -v[16:17]
	ds_read_b128 v[4:7], v108 offset:800
	v_mul_f64 v[8:9], v[12:13], s[2:3]
	v_mul_f64 v[10:11], v[14:15], s[2:3]
	ds_read_b128 v[12:15], v108 offset:1200
	buffer_load_dword v20, off, s[52:55], 0 offset:212 ; 4-byte Folded Reload
	buffer_load_dword v21, off, s[52:55], 0 offset:216 ; 4-byte Folded Reload
	;; [unrolled: 1-line block ×4, first 2 shown]
	s_waitcnt vmcnt(0) lgkmcnt(1)
	v_mul_f64 v[16:17], v[22:23], v[6:7]
	v_mul_f64 v[18:19], v[22:23], v[4:5]
	v_fma_f64 v[4:5], v[20:21], v[4:5], v[16:17]
	v_fma_f64 v[6:7], v[20:21], v[6:7], -v[18:19]
	buffer_load_dword v20, off, s[52:55], 0 offset:132 ; 4-byte Folded Reload
	buffer_load_dword v21, off, s[52:55], 0 offset:136 ; 4-byte Folded Reload
	;; [unrolled: 1-line block ×4, first 2 shown]
	v_mul_f64 v[4:5], v[4:5], s[2:3]
	global_store_dwordx4 v[0:1], v[8:11], off
	ds_read_b128 v[8:11], v108 offset:1600
	v_mul_f64 v[6:7], v[6:7], s[2:3]
	v_add_co_u32_e64 v0, s[0:1], s4, v0
	v_addc_co_u32_e64 v1, s[0:1], v1, v28, s[0:1]
	s_waitcnt vmcnt(1) lgkmcnt(1)
	v_mul_f64 v[16:17], v[22:23], v[14:15]
	v_mul_f64 v[18:19], v[22:23], v[12:13]
	v_fma_f64 v[16:17], v[20:21], v[12:13], v[16:17]
	v_fma_f64 v[18:19], v[20:21], v[14:15], -v[18:19]
	ds_read_b128 v[12:15], v108 offset:2000
	buffer_load_dword v24, off, s[52:55], 0 offset:180 ; 4-byte Folded Reload
	buffer_load_dword v25, off, s[52:55], 0 offset:184 ; 4-byte Folded Reload
	;; [unrolled: 1-line block ×4, first 2 shown]
	s_waitcnt vmcnt(0) lgkmcnt(1)
	v_mul_f64 v[20:21], v[26:27], v[10:11]
	v_mul_f64 v[22:23], v[26:27], v[8:9]
	global_store_dwordx4 v[0:1], v[4:7], off
	v_add_co_u32_e64 v0, s[0:1], s4, v0
	v_mul_f64 v[4:5], v[16:17], s[2:3]
	v_mul_f64 v[6:7], v[18:19], s[2:3]
	v_addc_co_u32_e64 v1, s[0:1], v1, v28, s[0:1]
	v_fma_f64 v[8:9], v[24:25], v[8:9], v[20:21]
	v_fma_f64 v[16:17], v[24:25], v[10:11], -v[22:23]
	buffer_load_dword v22, off, s[52:55], 0 offset:100 ; 4-byte Folded Reload
	buffer_load_dword v23, off, s[52:55], 0 offset:104 ; 4-byte Folded Reload
	;; [unrolled: 1-line block ×4, first 2 shown]
	s_waitcnt vmcnt(0) lgkmcnt(0)
	v_mul_f64 v[18:19], v[24:25], v[14:15]
	v_mul_f64 v[20:21], v[24:25], v[12:13]
	global_store_dwordx4 v[0:1], v[4:7], off
	v_add_co_u32_e64 v0, s[0:1], s4, v0
	v_mul_f64 v[4:5], v[8:9], s[2:3]
	ds_read_b128 v[8:11], v108 offset:2400
	v_mul_f64 v[6:7], v[16:17], s[2:3]
	v_fma_f64 v[16:17], v[22:23], v[12:13], v[18:19]
	v_fma_f64 v[18:19], v[22:23], v[14:15], -v[20:21]
	ds_read_b128 v[12:15], v108 offset:2800
	buffer_load_dword v24, off, s[52:55], 0 offset:164 ; 4-byte Folded Reload
	buffer_load_dword v25, off, s[52:55], 0 offset:168 ; 4-byte Folded Reload
	;; [unrolled: 1-line block ×4, first 2 shown]
	v_addc_co_u32_e64 v1, s[0:1], v1, v28, s[0:1]
	global_store_dwordx4 v[0:1], v[4:7], off
	s_nop 0
	v_mul_f64 v[4:5], v[16:17], s[2:3]
	v_mul_f64 v[6:7], v[18:19], s[2:3]
	v_add_co_u32_e64 v0, s[0:1], s4, v0
	v_addc_co_u32_e64 v1, s[0:1], v1, v28, s[0:1]
	s_waitcnt vmcnt(1) lgkmcnt(1)
	v_mul_f64 v[20:21], v[26:27], v[10:11]
	v_mul_f64 v[22:23], v[26:27], v[8:9]
	v_fma_f64 v[8:9], v[24:25], v[8:9], v[20:21]
	v_fma_f64 v[16:17], v[24:25], v[10:11], -v[22:23]
	buffer_load_dword v22, off, s[52:55], 0 offset:68 ; 4-byte Folded Reload
	buffer_load_dword v23, off, s[52:55], 0 offset:72 ; 4-byte Folded Reload
	;; [unrolled: 1-line block ×4, first 2 shown]
	s_waitcnt vmcnt(0) lgkmcnt(0)
	v_mul_f64 v[18:19], v[24:25], v[14:15]
	v_mul_f64 v[20:21], v[24:25], v[12:13]
	global_store_dwordx4 v[0:1], v[4:7], off
	v_add_co_u32_e64 v0, s[0:1], s4, v0
	v_mul_f64 v[4:5], v[8:9], s[2:3]
	ds_read_b128 v[8:11], v108 offset:3200
	v_mul_f64 v[6:7], v[16:17], s[2:3]
	v_fma_f64 v[16:17], v[22:23], v[12:13], v[18:19]
	v_fma_f64 v[18:19], v[22:23], v[14:15], -v[20:21]
	ds_read_b128 v[12:15], v108 offset:3600
	buffer_load_dword v24, off, s[52:55], 0 offset:148 ; 4-byte Folded Reload
	buffer_load_dword v25, off, s[52:55], 0 offset:152 ; 4-byte Folded Reload
	;; [unrolled: 1-line block ×4, first 2 shown]
	v_addc_co_u32_e64 v1, s[0:1], v1, v28, s[0:1]
	global_store_dwordx4 v[0:1], v[4:7], off
	s_nop 0
	v_mul_f64 v[4:5], v[16:17], s[2:3]
	v_mul_f64 v[6:7], v[18:19], s[2:3]
	v_add_co_u32_e64 v0, s[0:1], s4, v0
	v_addc_co_u32_e64 v1, s[0:1], v1, v28, s[0:1]
	s_waitcnt vmcnt(1) lgkmcnt(1)
	v_mul_f64 v[20:21], v[26:27], v[10:11]
	v_mul_f64 v[22:23], v[26:27], v[8:9]
	v_fma_f64 v[8:9], v[24:25], v[8:9], v[20:21]
	v_fma_f64 v[16:17], v[24:25], v[10:11], -v[22:23]
	buffer_load_dword v22, off, s[52:55], 0 offset:52 ; 4-byte Folded Reload
	buffer_load_dword v23, off, s[52:55], 0 offset:56 ; 4-byte Folded Reload
	;; [unrolled: 1-line block ×4, first 2 shown]
	s_waitcnt vmcnt(0) lgkmcnt(0)
	v_mul_f64 v[18:19], v[24:25], v[14:15]
	v_mul_f64 v[20:21], v[24:25], v[12:13]
	global_store_dwordx4 v[0:1], v[4:7], off
	v_add_co_u32_e64 v0, s[0:1], s4, v0
	v_mul_f64 v[4:5], v[8:9], s[2:3]
	v_mul_f64 v[6:7], v[16:17], s[2:3]
	ds_read_b128 v[8:11], v108 offset:4000
	v_fma_f64 v[16:17], v[22:23], v[12:13], v[18:19]
	v_fma_f64 v[18:19], v[22:23], v[14:15], -v[20:21]
	ds_read_b128 v[12:15], v108 offset:4400
	buffer_load_dword v24, off, s[52:55], 0 offset:36 ; 4-byte Folded Reload
	buffer_load_dword v25, off, s[52:55], 0 offset:40 ; 4-byte Folded Reload
	;; [unrolled: 1-line block ×4, first 2 shown]
	v_addc_co_u32_e64 v1, s[0:1], v1, v28, s[0:1]
	global_store_dwordx4 v[0:1], v[4:7], off
	v_add_co_u32_e64 v0, s[0:1], s4, v0
	v_mul_f64 v[4:5], v[16:17], s[2:3]
	v_mul_f64 v[6:7], v[18:19], s[2:3]
	ds_read_b128 v[16:19], v108 offset:4800
	buffer_load_dword v30, off, s[52:55], 0 offset:84 ; 4-byte Folded Reload
	buffer_load_dword v31, off, s[52:55], 0 offset:88 ; 4-byte Folded Reload
	;; [unrolled: 1-line block ×4, first 2 shown]
	v_addc_co_u32_e64 v1, s[0:1], v1, v28, s[0:1]
	s_waitcnt vmcnt(5) lgkmcnt(2)
	v_mul_f64 v[20:21], v[26:27], v[10:11]
	v_mul_f64 v[22:23], v[26:27], v[8:9]
	v_fma_f64 v[8:9], v[24:25], v[8:9], v[20:21]
	v_fma_f64 v[10:11], v[24:25], v[10:11], -v[22:23]
	s_waitcnt vmcnt(0) lgkmcnt(1)
	v_mul_f64 v[20:21], v[32:33], v[14:15]
	v_mul_f64 v[22:23], v[32:33], v[12:13]
	buffer_load_dword v32, off, s[52:55], 0 offset:116 ; 4-byte Folded Reload
	buffer_load_dword v33, off, s[52:55], 0 offset:120 ; 4-byte Folded Reload
	;; [unrolled: 1-line block ×4, first 2 shown]
	s_waitcnt vmcnt(0) lgkmcnt(0)
	v_mul_f64 v[24:25], v[34:35], v[18:19]
	v_mul_f64 v[26:27], v[34:35], v[16:17]
	global_store_dwordx4 v[0:1], v[4:7], off
	v_add_co_u32_e64 v0, s[0:1], s4, v0
	v_mul_f64 v[4:5], v[8:9], s[2:3]
	v_mul_f64 v[6:7], v[10:11], s[2:3]
	v_fma_f64 v[8:9], v[30:31], v[12:13], v[20:21]
	v_fma_f64 v[10:11], v[30:31], v[14:15], -v[22:23]
	v_fma_f64 v[12:13], v[32:33], v[16:17], v[24:25]
	v_fma_f64 v[14:15], v[32:33], v[18:19], -v[26:27]
	v_addc_co_u32_e64 v1, s[0:1], v1, v28, s[0:1]
	global_store_dwordx4 v[0:1], v[4:7], off
	v_mul_f64 v[8:9], v[8:9], s[2:3]
	v_mul_f64 v[10:11], v[10:11], s[2:3]
	;; [unrolled: 1-line block ×4, first 2 shown]
	v_add_co_u32_e64 v0, s[0:1], s4, v0
	v_addc_co_u32_e64 v1, s[0:1], v1, v28, s[0:1]
	global_store_dwordx4 v[0:1], v[8:11], off
	v_add_co_u32_e64 v0, s[0:1], s4, v0
	v_addc_co_u32_e64 v1, s[0:1], v1, v28, s[0:1]
	global_store_dwordx4 v[0:1], v[4:7], off
	s_and_b64 exec, exec, vcc
	s_cbranch_execz .LBB0_15
; %bb.14:
	buffer_load_dword v20, off, s[52:55], 0 offset:20 ; 4-byte Folded Reload
	buffer_load_dword v21, off, s[52:55], 0 offset:24 ; 4-byte Folded Reload
	ds_read_b128 v[8:11], v80 offset:208
	v_mov_b32_e32 v19, s5
	s_waitcnt vmcnt(0)
	global_load_dwordx4 v[4:7], v[20:21], off offset:208
	s_waitcnt vmcnt(0) lgkmcnt(0)
	v_mul_f64 v[12:13], v[10:11], v[6:7]
	v_mul_f64 v[6:7], v[8:9], v[6:7]
	v_fma_f64 v[8:9], v[8:9], v[4:5], v[12:13]
	v_fma_f64 v[6:7], v[4:5], v[10:11], -v[6:7]
	v_mul_f64 v[4:5], v[8:9], s[2:3]
	v_mul_f64 v[6:7], v[6:7], s[2:3]
	v_mov_b32_e32 v8, 0xffffee10
	v_mad_u64_u32 v[0:1], s[0:1], s8, v8, v[0:1]
	s_mul_i32 s0, s9, 0xffffee10
	s_sub_i32 s0, s0, s8
	v_add_u32_e32 v1, s0, v1
	s_movk_i32 s0, 0x1000
	global_store_dwordx4 v[0:1], v[4:7], off
	global_load_dwordx4 v[4:7], v[20:21], off offset:608
	ds_read_b128 v[8:11], v108 offset:608
	ds_read_b128 v[12:15], v108 offset:1008
	v_add_co_u32_e32 v0, vcc, s4, v0
	v_addc_co_u32_e32 v1, vcc, v1, v19, vcc
	s_waitcnt vmcnt(0) lgkmcnt(1)
	v_mul_f64 v[16:17], v[10:11], v[6:7]
	v_mul_f64 v[6:7], v[8:9], v[6:7]
	v_fma_f64 v[8:9], v[8:9], v[4:5], v[16:17]
	v_fma_f64 v[6:7], v[4:5], v[10:11], -v[6:7]
	v_mul_f64 v[4:5], v[8:9], s[2:3]
	v_mul_f64 v[6:7], v[6:7], s[2:3]
	global_store_dwordx4 v[0:1], v[4:7], off
	global_load_dwordx4 v[4:7], v[20:21], off offset:1008
	v_add_co_u32_e32 v0, vcc, s4, v0
	v_addc_co_u32_e32 v1, vcc, v1, v19, vcc
	s_waitcnt vmcnt(0) lgkmcnt(0)
	v_mul_f64 v[8:9], v[14:15], v[6:7]
	v_mul_f64 v[6:7], v[12:13], v[6:7]
	v_fma_f64 v[8:9], v[12:13], v[4:5], v[8:9]
	v_fma_f64 v[6:7], v[4:5], v[14:15], -v[6:7]
	v_mul_f64 v[4:5], v[8:9], s[2:3]
	v_mul_f64 v[6:7], v[6:7], s[2:3]
	global_store_dwordx4 v[0:1], v[4:7], off
	global_load_dwordx4 v[4:7], v[20:21], off offset:1408
	ds_read_b128 v[8:11], v108 offset:1408
	ds_read_b128 v[12:15], v108 offset:1808
	v_add_co_u32_e32 v0, vcc, s4, v0
	v_addc_co_u32_e32 v1, vcc, v1, v19, vcc
	s_waitcnt vmcnt(0) lgkmcnt(1)
	v_mul_f64 v[16:17], v[10:11], v[6:7]
	v_mul_f64 v[6:7], v[8:9], v[6:7]
	v_fma_f64 v[8:9], v[8:9], v[4:5], v[16:17]
	v_fma_f64 v[6:7], v[4:5], v[10:11], -v[6:7]
	v_mul_f64 v[4:5], v[8:9], s[2:3]
	v_mul_f64 v[6:7], v[6:7], s[2:3]
	global_store_dwordx4 v[0:1], v[4:7], off
	global_load_dwordx4 v[4:7], v[20:21], off offset:1808
	v_add_co_u32_e32 v0, vcc, s4, v0
	v_addc_co_u32_e32 v1, vcc, v1, v19, vcc
	s_waitcnt vmcnt(0) lgkmcnt(0)
	v_mul_f64 v[8:9], v[14:15], v[6:7]
	v_mul_f64 v[6:7], v[12:13], v[6:7]
	v_fma_f64 v[8:9], v[12:13], v[4:5], v[8:9]
	v_fma_f64 v[6:7], v[4:5], v[14:15], -v[6:7]
	v_mul_f64 v[4:5], v[8:9], s[2:3]
	v_mul_f64 v[6:7], v[6:7], s[2:3]
	;; [unrolled: 24-line block ×4, first 2 shown]
	global_store_dwordx4 v[0:1], v[4:7], off
	global_load_dwordx4 v[4:7], v[20:21], off offset:3808
	ds_read_b128 v[8:11], v108 offset:3808
	ds_read_b128 v[12:15], v108 offset:4208
	s_waitcnt vmcnt(0) lgkmcnt(1)
	v_mul_f64 v[16:17], v[10:11], v[6:7]
	v_mul_f64 v[6:7], v[8:9], v[6:7]
	v_fma_f64 v[8:9], v[8:9], v[4:5], v[16:17]
	v_fma_f64 v[6:7], v[4:5], v[10:11], -v[6:7]
	v_add_co_u32_e32 v16, vcc, s0, v20
	v_addc_co_u32_e32 v17, vcc, 0, v21, vcc
	v_add_co_u32_e32 v0, vcc, s4, v0
	v_mul_f64 v[4:5], v[8:9], s[2:3]
	v_mul_f64 v[6:7], v[6:7], s[2:3]
	v_addc_co_u32_e32 v1, vcc, v1, v19, vcc
	v_add_co_u32_e32 v18, vcc, s4, v0
	v_or_b32_e32 v20, 0x120, v29
	v_addc_co_u32_e32 v19, vcc, v1, v19, vcc
	global_store_dwordx4 v[0:1], v[4:7], off
	global_load_dwordx4 v[4:7], v[16:17], off offset:112
	s_waitcnt vmcnt(0) lgkmcnt(0)
	v_mul_f64 v[8:9], v[14:15], v[6:7]
	v_mul_f64 v[6:7], v[12:13], v[6:7]
	v_fma_f64 v[8:9], v[12:13], v[4:5], v[8:9]
	v_fma_f64 v[6:7], v[4:5], v[14:15], -v[6:7]
	v_mul_f64 v[4:5], v[8:9], s[2:3]
	v_mul_f64 v[6:7], v[6:7], s[2:3]
	v_lshlrev_b32_e32 v8, 4, v20
	global_store_dwordx4 v[18:19], v[4:7], off
	global_load_dwordx4 v[4:7], v8, s[6:7]
	ds_read_b128 v[8:11], v108 offset:4608
	ds_read_b128 v[12:15], v108 offset:5008
	s_waitcnt vmcnt(0) lgkmcnt(1)
	v_mul_f64 v[0:1], v[10:11], v[6:7]
	v_mul_f64 v[6:7], v[8:9], v[6:7]
	v_fma_f64 v[0:1], v[8:9], v[4:5], v[0:1]
	v_fma_f64 v[6:7], v[4:5], v[10:11], -v[6:7]
	v_mad_u64_u32 v[8:9], s[0:1], s8, v20, 0
	v_mov_b32_e32 v4, v9
	v_mad_u64_u32 v[9:10], s[0:1], s9, v20, v[4:5]
	v_mul_f64 v[4:5], v[0:1], s[2:3]
	v_mul_f64 v[6:7], v[6:7], s[2:3]
	v_lshlrev_b64 v[0:1], 4, v[8:9]
	v_add_co_u32_e32 v0, vcc, v2, v0
	v_addc_co_u32_e32 v1, vcc, v3, v1, vcc
	global_store_dwordx4 v[0:1], v[4:7], off
	global_load_dwordx4 v[0:3], v[16:17], off offset:912
	s_waitcnt vmcnt(0) lgkmcnt(0)
	v_mul_f64 v[4:5], v[14:15], v[2:3]
	v_mul_f64 v[2:3], v[12:13], v[2:3]
	v_fma_f64 v[4:5], v[12:13], v[0:1], v[4:5]
	v_fma_f64 v[2:3], v[0:1], v[14:15], -v[2:3]
	v_mul_f64 v[0:1], v[4:5], s[2:3]
	v_mul_f64 v[2:3], v[2:3], s[2:3]
	v_mov_b32_e32 v4, 0x320
	v_mad_u64_u32 v[4:5], s[0:1], s8, v4, v[18:19]
	s_mul_i32 s0, s9, 0x320
	v_add_u32_e32 v5, s0, v5
	global_store_dwordx4 v[4:5], v[0:3], off
.LBB0_15:
	s_endpgm
	.section	.rodata,"a",@progbits
	.p2align	6, 0x0
	.amdhsa_kernel bluestein_single_fwd_len325_dim1_dp_op_CI_CI
		.amdhsa_group_segment_fixed_size 20800
		.amdhsa_private_segment_fixed_size 528
		.amdhsa_kernarg_size 104
		.amdhsa_user_sgpr_count 6
		.amdhsa_user_sgpr_private_segment_buffer 1
		.amdhsa_user_sgpr_dispatch_ptr 0
		.amdhsa_user_sgpr_queue_ptr 0
		.amdhsa_user_sgpr_kernarg_segment_ptr 1
		.amdhsa_user_sgpr_dispatch_id 0
		.amdhsa_user_sgpr_flat_scratch_init 0
		.amdhsa_user_sgpr_private_segment_size 0
		.amdhsa_uses_dynamic_stack 0
		.amdhsa_system_sgpr_private_segment_wavefront_offset 1
		.amdhsa_system_sgpr_workgroup_id_x 1
		.amdhsa_system_sgpr_workgroup_id_y 0
		.amdhsa_system_sgpr_workgroup_id_z 0
		.amdhsa_system_sgpr_workgroup_info 0
		.amdhsa_system_vgpr_workitem_id 0
		.amdhsa_next_free_vgpr 256
		.amdhsa_next_free_sgpr 56
		.amdhsa_reserve_vcc 1
		.amdhsa_reserve_flat_scratch 0
		.amdhsa_float_round_mode_32 0
		.amdhsa_float_round_mode_16_64 0
		.amdhsa_float_denorm_mode_32 3
		.amdhsa_float_denorm_mode_16_64 3
		.amdhsa_dx10_clamp 1
		.amdhsa_ieee_mode 1
		.amdhsa_fp16_overflow 0
		.amdhsa_exception_fp_ieee_invalid_op 0
		.amdhsa_exception_fp_denorm_src 0
		.amdhsa_exception_fp_ieee_div_zero 0
		.amdhsa_exception_fp_ieee_overflow 0
		.amdhsa_exception_fp_ieee_underflow 0
		.amdhsa_exception_fp_ieee_inexact 0
		.amdhsa_exception_int_div_zero 0
	.end_amdhsa_kernel
	.text
.Lfunc_end0:
	.size	bluestein_single_fwd_len325_dim1_dp_op_CI_CI, .Lfunc_end0-bluestein_single_fwd_len325_dim1_dp_op_CI_CI
                                        ; -- End function
	.section	.AMDGPU.csdata,"",@progbits
; Kernel info:
; codeLenInByte = 37804
; NumSgprs: 60
; NumVgprs: 256
; ScratchSize: 528
; MemoryBound: 0
; FloatMode: 240
; IeeeMode: 1
; LDSByteSize: 20800 bytes/workgroup (compile time only)
; SGPRBlocks: 7
; VGPRBlocks: 63
; NumSGPRsForWavesPerEU: 60
; NumVGPRsForWavesPerEU: 256
; Occupancy: 1
; WaveLimiterHint : 1
; COMPUTE_PGM_RSRC2:SCRATCH_EN: 1
; COMPUTE_PGM_RSRC2:USER_SGPR: 6
; COMPUTE_PGM_RSRC2:TRAP_HANDLER: 0
; COMPUTE_PGM_RSRC2:TGID_X_EN: 1
; COMPUTE_PGM_RSRC2:TGID_Y_EN: 0
; COMPUTE_PGM_RSRC2:TGID_Z_EN: 0
; COMPUTE_PGM_RSRC2:TIDIG_COMP_CNT: 0
	.type	__hip_cuid_947a56259a526037,@object ; @__hip_cuid_947a56259a526037
	.section	.bss,"aw",@nobits
	.globl	__hip_cuid_947a56259a526037
__hip_cuid_947a56259a526037:
	.byte	0                               ; 0x0
	.size	__hip_cuid_947a56259a526037, 1

	.ident	"AMD clang version 19.0.0git (https://github.com/RadeonOpenCompute/llvm-project roc-6.4.0 25133 c7fe45cf4b819c5991fe208aaa96edf142730f1d)"
	.section	".note.GNU-stack","",@progbits
	.addrsig
	.addrsig_sym __hip_cuid_947a56259a526037
	.amdgpu_metadata
---
amdhsa.kernels:
  - .args:
      - .actual_access:  read_only
        .address_space:  global
        .offset:         0
        .size:           8
        .value_kind:     global_buffer
      - .actual_access:  read_only
        .address_space:  global
        .offset:         8
        .size:           8
        .value_kind:     global_buffer
      - .actual_access:  read_only
        .address_space:  global
        .offset:         16
        .size:           8
        .value_kind:     global_buffer
      - .actual_access:  read_only
        .address_space:  global
        .offset:         24
        .size:           8
        .value_kind:     global_buffer
      - .actual_access:  read_only
        .address_space:  global
        .offset:         32
        .size:           8
        .value_kind:     global_buffer
      - .offset:         40
        .size:           8
        .value_kind:     by_value
      - .address_space:  global
        .offset:         48
        .size:           8
        .value_kind:     global_buffer
      - .address_space:  global
        .offset:         56
        .size:           8
        .value_kind:     global_buffer
      - .address_space:  global
        .offset:         64
        .size:           8
        .value_kind:     global_buffer
      - .address_space:  global
        .offset:         72
        .size:           8
        .value_kind:     global_buffer
      - .offset:         80
        .size:           4
        .value_kind:     by_value
      - .address_space:  global
        .offset:         88
        .size:           8
        .value_kind:     global_buffer
      - .address_space:  global
        .offset:         96
        .size:           8
        .value_kind:     global_buffer
    .group_segment_fixed_size: 20800
    .kernarg_segment_align: 8
    .kernarg_segment_size: 104
    .language:       OpenCL C
    .language_version:
      - 2
      - 0
    .max_flat_workgroup_size: 52
    .name:           bluestein_single_fwd_len325_dim1_dp_op_CI_CI
    .private_segment_fixed_size: 528
    .sgpr_count:     60
    .sgpr_spill_count: 0
    .symbol:         bluestein_single_fwd_len325_dim1_dp_op_CI_CI.kd
    .uniform_work_group_size: 1
    .uses_dynamic_stack: false
    .vgpr_count:     256
    .vgpr_spill_count: 135
    .wavefront_size: 64
amdhsa.target:   amdgcn-amd-amdhsa--gfx906
amdhsa.version:
  - 1
  - 2
...

	.end_amdgpu_metadata
